;; amdgpu-corpus repo=ROCm/rocFFT kind=compiled arch=gfx950 opt=O3
	.text
	.amdgcn_target "amdgcn-amd-amdhsa--gfx950"
	.amdhsa_code_object_version 6
	.protected	bluestein_single_back_len1890_dim1_sp_op_CI_CI ; -- Begin function bluestein_single_back_len1890_dim1_sp_op_CI_CI
	.globl	bluestein_single_back_len1890_dim1_sp_op_CI_CI
	.p2align	8
	.type	bluestein_single_back_len1890_dim1_sp_op_CI_CI,@function
bluestein_single_back_len1890_dim1_sp_op_CI_CI: ; @bluestein_single_back_len1890_dim1_sp_op_CI_CI
; %bb.0:
	s_load_dwordx4 s[8:11], s[0:1], 0x28
	v_mul_u32_u24_e32 v1, 0x209, v0
	v_mov_b32_e32 v149, 0
	v_add_u32_sdwa v158, s2, v1 dst_sel:DWORD dst_unused:UNUSED_PAD src0_sel:DWORD src1_sel:WORD_1
	v_mov_b32_e32 v159, v149
	s_waitcnt lgkmcnt(0)
	v_cmp_gt_u64_e32 vcc, s[8:9], v[158:159]
	s_and_saveexec_b64 s[2:3], vcc
	s_cbranch_execz .LBB0_25
; %bb.1:
	s_load_dwordx4 s[4:7], s[0:1], 0x18
	s_load_dwordx2 s[14:15], s[0:1], 0x0
	v_mov_b32_e32 v2, s10
	v_mov_b32_e32 v3, s11
	s_movk_i32 s2, 0x7e
	s_waitcnt lgkmcnt(0)
	s_load_dwordx4 s[8:11], s[4:5], 0x0
	v_mul_lo_u16_sdwa v1, v1, s2 dst_sel:DWORD dst_unused:UNUSED_PAD src0_sel:WORD_1 src1_sel:DWORD
	v_sub_u16_e32 v148, v0, v1
	v_lshlrev_b32_e32 v132, 3, v148
	v_mov_b32_e32 v133, v149
	s_waitcnt lgkmcnt(0)
	v_mad_u64_u32 v[0:1], s[2:3], s10, v158, 0
	v_mov_b32_e32 v4, v1
	v_mad_u64_u32 v[4:5], s[2:3], s11, v158, v[4:5]
	v_mov_b32_e32 v1, v4
	v_mad_u64_u32 v[4:5], s[2:3], s8, v148, 0
	v_mov_b32_e32 v6, v5
	v_mad_u64_u32 v[6:7], s[2:3], s9, v148, v[6:7]
	s_mul_i32 s2, s9, 0x3b1
	s_mul_hi_u32 s3, s8, 0x3b1
	v_mov_b32_e32 v5, v6
	v_lshl_add_u64 v[0:1], v[0:1], 3, v[2:3]
	s_add_i32 s3, s3, s2
	s_mul_i32 s2, s8, 0x3b1
	v_lshl_add_u64 v[0:1], v[4:5], 3, v[0:1]
	v_lshl_add_u64 v[134:135], s[14:15], 0, v[132:133]
	s_lshl_b64 s[10:11], s[2:3], 3
	s_movk_i32 s4, 0x1000
	s_mul_hi_u32 s5, s8, 0xfffffccd
	v_lshl_add_u64 v[2:3], v[0:1], 0, s[10:11]
	global_load_dwordx2 v[4:5], v[0:1], off
	global_load_dwordx2 v[6:7], v[2:3], off
	v_add_co_u32_e32 v0, vcc, s4, v134
	s_mul_i32 s4, s9, 0xfffffccd
	s_sub_i32 s5, s5, s8
	v_addc_co_u32_e32 v1, vcc, 0, v135, vcc
	global_load_dwordx2 v[166:167], v132, s[14:15]
	global_load_dwordx2 v[162:163], v132, s[14:15] offset:1008
	s_add_i32 s5, s5, s4
	s_mul_i32 s4, s8, 0xfffffccd
	global_load_dwordx2 v[164:165], v[0:1], off offset:3464
	s_lshl_b64 s[8:9], s[4:5], 3
	v_lshl_add_u64 v[2:3], v[2:3], 0, s[8:9]
	s_movk_i32 s12, 0x2000
	v_lshl_add_u64 v[8:9], v[2:3], 0, s[10:11]
	global_load_dwordx2 v[10:11], v[2:3], off
	global_load_dwordx2 v[12:13], v[8:9], off
	v_add_co_u32_e32 v2, vcc, s12, v134
	v_lshl_add_u64 v[8:9], v[8:9], 0, s[8:9]
	s_nop 0
	v_addc_co_u32_e32 v3, vcc, 0, v135, vcc
	global_load_dwordx2 v[160:161], v[2:3], off offset:376
	global_load_dwordx2 v[14:15], v[8:9], off
	global_load_dwordx2 v[156:157], v132, s[14:15] offset:2016
	v_lshl_add_u64 v[8:9], v[8:9], 0, s[10:11]
	global_load_dwordx2 v[16:17], v[8:9], off
	global_load_dwordx2 v[154:155], v[2:3], off offset:1384
	v_lshl_add_u64 v[8:9], v[8:9], 0, s[8:9]
	global_load_dwordx2 v[18:19], v[8:9], off
	global_load_dwordx2 v[152:153], v132, s[14:15] offset:3024
	v_lshl_add_u64 v[8:9], v[8:9], 0, s[10:11]
	global_load_dwordx2 v[20:21], v[8:9], off
	global_load_dwordx2 v[150:151], v[2:3], off offset:2392
	v_lshl_add_u64 v[8:9], v[8:9], 0, s[8:9]
	global_load_dwordx2 v[22:23], v[8:9], off
	global_load_dwordx2 v[146:147], v132, s[14:15] offset:4032
	v_lshl_add_u64 v[8:9], v[8:9], 0, s[10:11]
	global_load_dwordx2 v[24:25], v[8:9], off
	global_load_dwordx2 v[144:145], v[2:3], off offset:3400
	v_lshl_add_u64 v[2:3], v[8:9], 0, s[8:9]
	s_movk_i32 s12, 0x3000
	global_load_dwordx2 v[8:9], v[2:3], off
	global_load_dwordx2 v[142:143], v[0:1], off offset:944
	v_lshl_add_u64 v[2:3], v[2:3], 0, s[10:11]
	v_add_co_u32_e32 v28, vcc, s12, v134
	global_load_dwordx2 v[26:27], v[2:3], off
	s_nop 0
	v_addc_co_u32_e32 v29, vcc, 0, v135, vcc
	v_lshl_add_u64 v[2:3], v[2:3], 0, s[8:9]
	global_load_dwordx2 v[140:141], v[28:29], off offset:312
	global_load_dwordx2 v[30:31], v[2:3], off
	global_load_dwordx2 v[138:139], v[0:1], off offset:1952
	v_lshl_add_u64 v[0:1], v[2:3], 0, s[10:11]
	global_load_dwordx2 v[136:137], v[28:29], off offset:1320
	global_load_dwordx2 v[2:3], v[0:1], off
	s_load_dwordx2 s[12:13], s[0:1], 0x38
	s_load_dwordx4 s[8:11], s[6:7], 0x0
	v_cmp_gt_u16_e64 s[6:7], 63, v148
	s_waitcnt vmcnt(25)
	v_mul_f32_e32 v28, v5, v167
	v_mul_f32_e32 v29, v4, v167
	v_fmac_f32_e32 v28, v4, v166
	v_fma_f32 v29, v5, v166, -v29
	s_waitcnt vmcnt(23)
	v_mul_f32_e32 v4, v7, v165
	v_mul_f32_e32 v5, v6, v165
	v_fmac_f32_e32 v4, v6, v164
	v_fma_f32 v5, v7, v164, -v5
	ds_write_b64 v132, v[4:5] offset:7560
	s_waitcnt vmcnt(22)
	v_mul_f32_e32 v4, v11, v163
	v_mul_f32_e32 v5, v10, v163
	v_fmac_f32_e32 v4, v10, v162
	v_fma_f32 v5, v11, v162, -v5
	ds_write2_b64 v132, v[28:29], v[4:5] offset1:126
	s_waitcnt vmcnt(20)
	v_mul_f32_e32 v4, v12, v161
	v_mul_f32_e32 v6, v13, v161
	v_fma_f32 v7, v13, v160, -v4
	s_waitcnt vmcnt(18)
	v_mul_f32_e32 v4, v14, v157
	v_fmac_f32_e32 v6, v12, v160
	v_fma_f32 v11, v15, v156, -v4
	s_waitcnt vmcnt(16)
	v_mul_f32_e32 v12, v17, v155
	v_mul_f32_e32 v4, v16, v155
	v_fmac_f32_e32 v12, v16, v154
	v_fma_f32 v13, v17, v154, -v4
	v_add_u32_e32 v4, 0x2000, v132
	v_mul_f32_e32 v10, v15, v157
	ds_write2_b64 v4, v[6:7], v[12:13] offset0:47 offset1:173
	s_waitcnt vmcnt(14)
	v_mul_f32_e32 v6, v19, v153
	v_mul_f32_e32 v5, v18, v153
	v_fmac_f32_e32 v10, v14, v156
	v_fmac_f32_e32 v6, v18, v152
	v_fma_f32 v7, v19, v152, -v5
	v_add_u32_e32 v5, 0x400, v132
	ds_write2_b64 v5, v[10:11], v[6:7] offset0:124 offset1:250
	s_waitcnt vmcnt(12)
	v_mul_f32_e32 v6, v20, v151
	v_fma_f32 v11, v21, v150, -v6
	s_waitcnt vmcnt(10)
	v_mul_f32_e32 v6, v22, v147
	v_mul_f32_e32 v10, v21, v151
	v_fma_f32 v13, v23, v146, -v6
	s_waitcnt vmcnt(8)
	v_mul_f32_e32 v14, v25, v145
	v_mul_f32_e32 v6, v24, v145
	v_fmac_f32_e32 v10, v20, v150
	v_fmac_f32_e32 v14, v24, v144
	v_fma_f32 v15, v25, v144, -v6
	v_add_u32_e32 v6, 0x2800, v132
	v_mul_f32_e32 v12, v23, v147
	ds_write2_b64 v6, v[10:11], v[14:15] offset0:43 offset1:169
	s_waitcnt vmcnt(6)
	v_mul_f32_e32 v10, v9, v143
	v_mul_f32_e32 v7, v8, v143
	v_fmac_f32_e32 v12, v22, v146
	v_fmac_f32_e32 v10, v8, v142
	v_fma_f32 v11, v9, v142, -v7
	v_add_u32_e32 v7, 0xc00, v132
	ds_write2_b64 v7, v[12:13], v[10:11] offset0:120 offset1:246
	s_waitcnt vmcnt(2)
	v_mul_f32_e32 v10, v31, v139
	v_mul_f32_e32 v11, v30, v139
	v_fmac_f32_e32 v10, v30, v138
	v_fma_f32 v11, v31, v138, -v11
	ds_write_b64 v132, v[10:11] offset:6048
	s_waitcnt vmcnt(0)
	v_mul_f32_e32 v10, v3, v137
	v_mul_f32_e32 v8, v27, v141
	;; [unrolled: 1-line block ×3, first 2 shown]
	v_fmac_f32_e32 v10, v2, v136
	v_mul_f32_e32 v2, v2, v137
	v_fmac_f32_e32 v8, v26, v140
	v_fma_f32 v9, v27, v140, -v9
	v_fma_f32 v11, v3, v136, -v2
	v_add_u32_e32 v16, 0x3000, v132
	ds_write2_b64 v16, v[8:9], v[10:11] offset0:39 offset1:165
	s_and_saveexec_b64 s[16:17], s[6:7]
	s_cbranch_execz .LBB0_3
; %bb.2:
	v_add_co_u32_e32 v8, vcc, 0x1000, v134
	v_lshl_add_u64 v[0:1], s[4:5], 3, v[0:1]
	s_nop 0
	v_addc_co_u32_e32 v9, vcc, 0, v135, vcc
	v_add_co_u32_e32 v10, vcc, 0x3000, v134
	global_load_dwordx2 v[2:3], v[0:1], off
	v_lshl_add_u64 v[0:1], s[2:3], 3, v[0:1]
	global_load_dwordx2 v[8:9], v[8:9], off offset:2960
	v_addc_co_u32_e32 v11, vcc, 0, v135, vcc
	global_load_dwordx2 v[10:11], v[10:11], off offset:2328
	s_waitcnt vmcnt(1)
	v_mul_f32_e32 v12, v3, v9
	global_load_dwordx2 v[0:1], v[0:1], off
	v_mul_f32_e32 v9, v2, v9
	v_fmac_f32_e32 v12, v2, v8
	v_fma_f32 v13, v3, v8, -v9
	ds_write_b64 v132, v[12:13] offset:7056
	s_waitcnt vmcnt(0)
	v_mul_f32_e32 v2, v1, v11
	v_mul_f32_e32 v3, v0, v11
	v_fmac_f32_e32 v2, v0, v10
	v_fma_f32 v3, v1, v10, -v3
	ds_write_b64 v132, v[2:3] offset:14616
.LBB0_3:
	s_or_b64 exec, exec, s[16:17]
	v_add_u32_e32 v0, 0x1600, v132
	s_waitcnt lgkmcnt(0)
	s_barrier
	ds_read2_b64 v[12:15], v132 offset1:126
	ds_read2_b64 v[0:3], v0 offset0:52 offset1:241
	ds_read2_b64 v[24:27], v4 offset0:47 offset1:173
	;; [unrolled: 1-line block ×6, first 2 shown]
	s_load_dwordx2 s[0:1], s[0:1], 0x8
                                        ; implicit-def: $vgpr28
                                        ; implicit-def: $vgpr30
	s_and_saveexec_b64 s[2:3], s[6:7]
	s_cbranch_execz .LBB0_5
; %bb.4:
	ds_read_b64 v[28:29], v132 offset:7056
	ds_read_b64 v[30:31], v132 offset:14616
.LBB0_5:
	s_or_b64 exec, exec, s[2:3]
	s_mov_b64 s[2:3], 0x7e
	v_lshl_add_u64 v[110:111], v[148:149], 0, s[2:3]
	s_mov_b64 s[2:3], 0xfc
	v_lshl_add_u64 v[112:113], v[148:149], 0, s[2:3]
	;; [unrolled: 2-line block ×4, first 2 shown]
	s_mov_b64 s[2:3], 0x372
	s_waitcnt lgkmcnt(0)
	v_pk_add_f32 v[32:33], v[12:13], v[2:3] neg_lo:[0,1] neg_hi:[0,1]
	v_pk_add_f32 v[24:25], v[14:15], v[24:25] neg_lo:[0,1] neg_hi:[0,1]
	;; [unrolled: 1-line block ×3, first 2 shown]
	v_lshlrev_b16_e32 v18, 1, v148
	v_lshl_add_u64 v[40:41], v[148:149], 0, s[2:3]
	v_pk_add_f32 v[26:27], v[8:9], v[26:27] neg_lo:[0,1] neg_hi:[0,1]
	v_pk_add_f32 v[20:21], v[10:11], v[20:21] neg_lo:[0,1] neg_hi:[0,1]
	;; [unrolled: 1-line block ×5, first 2 shown]
	v_lshlrev_b32_e32 v228, 3, v18
	v_pk_fma_f32 v[30:31], v[12:13], 2.0, v[32:33] op_sel_hi:[1,0,1] neg_lo:[0,0,1] neg_hi:[0,0,1]
	v_lshlrev_b32_e32 v230, 4, v110
	v_pk_fma_f32 v[22:23], v[14:15], 2.0, v[24:25] op_sel_hi:[1,0,1] neg_lo:[0,0,1] neg_hi:[0,0,1]
	v_lshlrev_b32_e32 v182, 4, v148
	s_barrier
	ds_write_b128 v228, v[30:33]
	ds_write_b128 v230, v[22:25]
	v_lshlrev_b32_e32 v231, 4, v112
	v_pk_fma_f32 v[24:25], v[8:9], 2.0, v[26:27] op_sel_hi:[1,0,1] neg_lo:[0,0,1] neg_hi:[0,0,1]
	v_lshlrev_b32_e32 v249, 4, v38
	v_pk_fma_f32 v[18:19], v[10:11], 2.0, v[20:21] op_sel_hi:[1,0,1] neg_lo:[0,0,1] neg_hi:[0,0,1]
	;; [unrolled: 2-line block ×3, first 2 shown]
	v_pk_fma_f32 v[14:15], v[6:7], 2.0, v[16:17] op_sel_hi:[1,0,1] neg_lo:[0,0,1] neg_hi:[0,0,1]
	v_pk_fma_f32 v[0:1], v[0:1], 2.0, v[2:3] op_sel_hi:[1,0,1] neg_lo:[0,0,1] neg_hi:[0,0,1]
	v_lshlrev_b32_e32 v244, 4, v40
	ds_write_b128 v231, v[24:27]
	ds_write_b128 v249, v[18:21]
	;; [unrolled: 1-line block ×3, first 2 shown]
	ds_write_b128 v182, v[14:17] offset:10080
	ds_write_b128 v182, v[0:3] offset:12096
	s_and_saveexec_b64 s[2:3], s[6:7]
	s_cbranch_execz .LBB0_7
; %bb.6:
	v_pk_fma_f32 v[78:79], v[28:29], 2.0, v[80:81] op_sel_hi:[1,0,1] neg_lo:[0,0,1] neg_hi:[0,0,1]
	ds_write_b128 v244, v[78:81]
.LBB0_7:
	s_or_b64 exec, exec, s[2:3]
	v_and_b32_e32 v37, 1, v148
	v_lshlrev_b32_e32 v0, 4, v37
	s_waitcnt lgkmcnt(0)
	s_barrier
	global_load_dwordx4 v[0:3], v0, s[0:1]
	v_lshrrev_b32_e32 v16, 1, v148
	v_lshrrev_b32_e32 v17, 1, v110
	;; [unrolled: 1-line block ×5, first 2 shown]
	v_add_u32_e32 v7, 0xc00, v132
	v_add_u32_e32 v8, 0x1c00, v132
	ds_read_b64 v[4:5], v132 offset:14112
	v_add_u32_e32 v6, 0x400, v132
	v_add_u32_e32 v9, 0x2c00, v132
	;; [unrolled: 1-line block ×3, first 2 shown]
	ds_read2_b64 v[12:15], v132 offset1:126
	v_add_u32_e32 v11, 0x2400, v132
	v_mul_u32_u24_e32 v39, 6, v16
	v_mul_u32_u24_e32 v44, 6, v17
	;; [unrolled: 1-line block ×5, first 2 shown]
	ds_read2_b64 v[16:19], v7 offset0:120 offset1:246
	ds_read2_b64 v[20:23], v8 offset0:112 offset1:238
	;; [unrolled: 1-line block ×6, first 2 shown]
	v_or_b32_e32 v44, v44, v37
	v_or_b32_e32 v45, v45, v37
	;; [unrolled: 1-line block ×3, first 2 shown]
	v_lshlrev_b32_e32 v226, 3, v44
	v_lshlrev_b32_e32 v159, 3, v45
	;; [unrolled: 1-line block ×3, first 2 shown]
	v_or_b32_e32 v39, v39, v37
	v_or_b32_e32 v37, v47, v37
	s_mov_b32 s2, 0x3f5db3d7
	v_lshlrev_b32_e32 v229, 3, v39
	s_waitcnt lgkmcnt(0)
	s_barrier
	v_lshlrev_b32_e32 v133, 3, v37
	v_cmp_lt_u16_e64 s[4:5], 17, v148
                                        ; implicit-def: $vgpr120
                                        ; implicit-def: $vgpr122
                                        ; implicit-def: $vgpr118
                                        ; implicit-def: $vgpr124
                                        ; implicit-def: $vgpr130
                                        ; implicit-def: $vgpr126
                                        ; implicit-def: $vgpr168
                                        ; implicit-def: $vgpr128
                                        ; implicit-def: $vgpr170
	s_waitcnt vmcnt(0)
	v_pk_mul_f32 v[44:45], v[22:23], v[0:1] op_sel:[0,1]
	v_mov_b32_e32 v46, v3
	v_pk_mul_f32 v[48:49], v[20:21], v[0:1] op_sel:[0,1]
	v_pk_mul_f32 v[50:51], v[34:35], v[0:1] op_sel:[0,1]
	;; [unrolled: 1-line block ×4, first 2 shown]
	v_pk_fma_f32 v[56:57], v[22:23], v[0:1], v[44:45] op_sel:[0,0,1] op_sel_hi:[1,1,0] neg_lo:[0,0,1] neg_hi:[0,0,1]
	v_pk_fma_f32 v[22:23], v[22:23], v[0:1], v[44:45] op_sel:[0,0,1] op_sel_hi:[1,0,0]
	v_pk_mul_f32 v[44:45], v[4:5], v[46:47] op_sel_hi:[1,0]
	v_pk_fma_f32 v[58:59], v[20:21], v[0:1], v[48:49] op_sel:[0,0,1] op_sel_hi:[1,1,0] neg_lo:[0,0,1] neg_hi:[0,0,1]
	v_pk_fma_f32 v[20:21], v[20:21], v[0:1], v[48:49] op_sel:[0,0,1] op_sel_hi:[1,0,0]
	v_pk_mul_f32 v[48:49], v[30:31], v[46:47] op_sel_hi:[1,0]
	;; [unrolled: 3-line block ×5, first 2 shown]
	v_mov_b32_e32 v65, v19
	v_pk_fma_f32 v[18:19], v[40:41], v[2:3], v[46:47] op_sel:[0,0,1] op_sel_hi:[1,1,0] neg_lo:[0,0,1] neg_hi:[0,0,1]
	v_pk_fma_f32 v[40:41], v[40:41], v[2:3], v[46:47] op_sel:[0,0,1] op_sel_hi:[1,0,0]
	v_mov_b32_e32 v57, v23
	v_mov_b32_e32 v19, v41
	v_pk_add_f32 v[40:41], v[12:13], v[64:65]
	v_pk_fma_f32 v[22:23], v[4:5], v[2:3], v[44:45] op_sel:[0,0,1] op_sel_hi:[1,1,0] neg_lo:[0,0,1] neg_hi:[0,0,1]
	v_pk_fma_f32 v[4:5], v[4:5], v[2:3], v[44:45] op_sel:[0,0,1] op_sel_hi:[1,0,0]
	v_pk_add_f32 v[40:41], v[40:41], v[18:19]
	v_pk_add_f32 v[44:45], v[64:65], v[18:19]
	v_pk_add_f32 v[18:19], v[64:65], v[18:19] neg_lo:[0,1] neg_hi:[0,1]
	v_pk_fma_f32 v[12:13], v[44:45], 0.5, v[12:13] op_sel_hi:[1,0,1] neg_lo:[1,0,0] neg_hi:[1,0,0]
	v_pk_mul_f32 v[18:19], v[18:19], s[2:3] op_sel_hi:[1,0]
	v_mov_b32_e32 v63, v33
	v_pk_fma_f32 v[32:33], v[42:43], v[2:3], v[52:53] op_sel:[0,0,1] op_sel_hi:[1,1,0] neg_lo:[0,0,1] neg_hi:[0,0,1]
	v_pk_fma_f32 v[42:43], v[42:43], v[2:3], v[52:53] op_sel:[0,0,1] op_sel_hi:[1,0,0]
	v_pk_add_f32 v[44:45], v[12:13], v[18:19] op_sel:[0,1] op_sel_hi:[1,0]
	v_pk_add_f32 v[12:13], v[12:13], v[18:19] op_sel:[0,1] op_sel_hi:[1,0] neg_lo:[0,1] neg_hi:[0,1]
	v_mov_b32_e32 v33, v43
	v_mov_b32_e32 v19, v13
	;; [unrolled: 1-line block ×3, first 2 shown]
	ds_write_b64 v229, v[12:13] offset:32
	v_pk_add_f32 v[12:13], v[62:63], v[32:33]
	v_pk_add_f32 v[42:43], v[14:15], v[62:63]
	v_pk_fma_f32 v[12:13], v[12:13], 0.5, v[14:15] op_sel_hi:[1,0,1] neg_lo:[1,0,0] neg_hi:[1,0,0]
	v_pk_add_f32 v[14:15], v[62:63], v[32:33] neg_lo:[0,1] neg_hi:[0,1]
	v_mov_b32_e32 v18, v44
	v_pk_mul_f32 v[14:15], v[14:15], s[2:3] op_sel_hi:[1,0]
	v_mov_b32_e32 v61, v35
	v_pk_fma_f32 v[34:35], v[28:29], v[2:3], v[50:51] op_sel:[0,0,1] op_sel_hi:[1,1,0] neg_lo:[0,0,1] neg_hi:[0,0,1]
	v_pk_fma_f32 v[28:29], v[28:29], v[2:3], v[50:51] op_sel:[0,0,1] op_sel_hi:[1,0,0]
	ds_write2_b64 v229, v[40:41], v[18:19] offset1:2
	v_pk_add_f32 v[18:19], v[12:13], v[14:15] op_sel:[0,1] op_sel_hi:[1,0]
	v_pk_add_f32 v[12:13], v[12:13], v[14:15] op_sel:[0,1] op_sel_hi:[1,0] neg_lo:[0,1] neg_hi:[0,1]
	v_mov_b32_e32 v35, v29
	v_pk_add_f32 v[42:43], v[42:43], v[32:33]
	v_mov_b32_e32 v14, v18
	v_mov_b32_e32 v15, v13
	;; [unrolled: 1-line block ×3, first 2 shown]
	ds_write2_b64 v226, v[42:43], v[14:15] offset1:2
	ds_write_b64 v226, v[12:13] offset:32
	v_pk_add_f32 v[12:13], v[60:61], v[34:35]
	v_pk_add_f32 v[14:15], v[60:61], v[34:35] neg_lo:[0,1] neg_hi:[0,1]
	v_pk_fma_f32 v[12:13], v[12:13], 0.5, v[24:25] op_sel_hi:[1,0,1] neg_lo:[1,0,0] neg_hi:[1,0,0]
	v_pk_mul_f32 v[14:15], v[14:15], s[2:3] op_sel_hi:[1,0]
	v_mov_b32_e32 v59, v21
	v_pk_fma_f32 v[20:21], v[30:31], v[2:3], v[48:49] op_sel:[0,0,1] op_sel_hi:[1,1,0] neg_lo:[0,0,1] neg_hi:[0,0,1]
	v_pk_fma_f32 v[30:31], v[30:31], v[2:3], v[48:49] op_sel:[0,0,1] op_sel_hi:[1,0,0]
	v_pk_add_f32 v[28:29], v[24:25], v[60:61]
	v_pk_add_f32 v[18:19], v[12:13], v[14:15] op_sel:[0,1] op_sel_hi:[1,0]
	v_pk_add_f32 v[12:13], v[12:13], v[14:15] op_sel:[0,1] op_sel_hi:[1,0] neg_lo:[0,1] neg_hi:[0,1]
	v_mov_b32_e32 v21, v31
	v_pk_add_f32 v[28:29], v[28:29], v[34:35]
	v_mov_b32_e32 v14, v18
	v_mov_b32_e32 v15, v13
	;; [unrolled: 1-line block ×3, first 2 shown]
	ds_write2_b64 v159, v[28:29], v[14:15] offset1:2
	ds_write_b64 v159, v[12:13] offset:32
	v_pk_add_f32 v[12:13], v[58:59], v[20:21]
	v_pk_add_f32 v[14:15], v[58:59], v[20:21] neg_lo:[0,1] neg_hi:[0,1]
	v_pk_fma_f32 v[12:13], v[12:13], 0.5, v[26:27] op_sel_hi:[1,0,1] neg_lo:[1,0,0] neg_hi:[1,0,0]
	v_pk_mul_f32 v[14:15], v[14:15], s[2:3] op_sel_hi:[1,0]
	v_pk_add_f32 v[30:31], v[26:27], v[58:59]
	v_pk_add_f32 v[18:19], v[12:13], v[14:15] op_sel:[0,1] op_sel_hi:[1,0]
	v_pk_add_f32 v[12:13], v[12:13], v[14:15] op_sel:[0,1] op_sel_hi:[1,0] neg_lo:[0,1] neg_hi:[0,1]
	v_mov_b32_e32 v23, v5
	v_pk_add_f32 v[30:31], v[30:31], v[20:21]
	v_mov_b32_e32 v14, v18
	v_mov_b32_e32 v15, v13
	;; [unrolled: 1-line block ×3, first 2 shown]
	ds_write2_b64 v149, v[30:31], v[14:15] offset1:2
	ds_write_b64 v149, v[12:13] offset:32
	v_pk_add_f32 v[12:13], v[56:57], v[22:23]
	v_pk_add_f32 v[14:15], v[56:57], v[22:23] neg_lo:[0,1] neg_hi:[0,1]
	v_pk_fma_f32 v[12:13], v[12:13], 0.5, v[16:17] op_sel_hi:[1,0,1] neg_lo:[1,0,0] neg_hi:[1,0,0]
	v_pk_mul_f32 v[14:15], v[14:15], s[2:3] op_sel_hi:[1,0]
	v_pk_add_f32 v[4:5], v[16:17], v[56:57]
	v_pk_add_f32 v[16:17], v[12:13], v[14:15] op_sel:[0,1] op_sel_hi:[1,0]
	v_pk_add_f32 v[12:13], v[12:13], v[14:15] op_sel:[0,1] op_sel_hi:[1,0] neg_lo:[0,1] neg_hi:[0,1]
	v_pk_add_f32 v[4:5], v[4:5], v[22:23]
	v_mov_b32_e32 v14, v16
	v_mov_b32_e32 v15, v13
	s_mov_b32 s3, 0xaaab
	ds_write2_b64 v133, v[4:5], v[14:15] offset1:2
	v_mul_u32_u24_sdwa v4, v112, s3 dst_sel:DWORD dst_unused:UNUSED_PAD src0_sel:WORD_0 src1_sel:DWORD
	v_lshrrev_b32_e32 v37, 18, v4
	v_mul_lo_u16_e32 v4, 6, v37
	v_sub_u16_e32 v39, v112, v4
	v_mov_b32_e32 v13, v17
	v_lshlrev_b16_e32 v4, 4, v39
	v_mov_b32_e32 v5, 0
	ds_write_b64 v133, v[12:13] offset:32
	v_lshl_add_u64 v[12:13], s[0:1], 0, v[4:5]
	v_mul_u32_u24_sdwa v4, v38, s3 dst_sel:DWORD dst_unused:UNUSED_PAD src0_sel:WORD_0 src1_sel:DWORD
	v_lshrrev_b32_e32 v84, 18, v4
	v_mul_lo_u16_e32 v4, 6, v84
	v_sub_u16_e32 v85, v38, v4
	v_lshlrev_b16_e32 v4, 4, v85
	v_lshl_add_u64 v[14:15], s[0:1], 0, v[4:5]
	v_mul_u32_u24_sdwa v4, v36, s3 dst_sel:DWORD dst_unused:UNUSED_PAD src0_sel:WORD_0 src1_sel:DWORD
	v_lshrrev_b32_e32 v86, 18, v4
	v_mul_lo_u16_e32 v4, 6, v86
	v_sub_u16_e32 v87, v36, v4
	v_lshlrev_b16_e32 v4, 4, v87
	v_lshl_add_u64 v[16:17], s[0:1], 0, v[4:5]
	s_waitcnt lgkmcnt(0)
	s_barrier
	global_load_dwordx4 v[32:35], v[16:17], off offset:32
	global_load_dwordx4 v[28:31], v[14:15], off offset:32
	;; [unrolled: 1-line block ×3, first 2 shown]
	s_movk_i32 s3, 0xab
	v_mul_lo_u16_sdwa v4, v110, s3 dst_sel:DWORD dst_unused:UNUSED_PAD src0_sel:BYTE_0 src1_sel:DWORD
	v_lshrrev_b16_e32 v88, 10, v4
	v_mul_lo_u16_e32 v4, 6, v88
	v_sub_u16_e32 v4, v110, v4
	v_and_b32_e32 v89, 0xff, v4
	v_lshlrev_b32_e32 v4, 4, v89
	global_load_dwordx4 v[20:23], v4, s[0:1] offset:32
	v_mul_lo_u16_sdwa v4, v148, s3 dst_sel:DWORD dst_unused:UNUSED_PAD src0_sel:BYTE_0 src1_sel:DWORD
	v_lshrrev_b16_e32 v82, 10, v4
	v_mul_lo_u16_e32 v4, 6, v82
	v_sub_u16_e32 v4, v148, v4
	v_and_b32_e32 v83, 0xff, v4
	v_lshlrev_b32_e32 v4, 4, v83
	global_load_dwordx4 v[12:15], v4, s[0:1] offset:32
	ds_read2_b64 v[16:19], v8 offset0:112 offset1:238
	s_waitcnt vmcnt(4) lgkmcnt(0)
	v_pk_mul_f32 v[40:41], v[18:19], v[32:33] op_sel:[0,1]
	s_nop 0
	v_pk_fma_f32 v[48:49], v[18:19], v[32:33], v[40:41] op_sel:[0,0,1] op_sel_hi:[1,1,0] neg_lo:[0,0,1] neg_hi:[0,0,1]
	v_pk_fma_f32 v[50:51], v[18:19], v[32:33], v[40:41] op_sel:[0,0,1] op_sel_hi:[1,0,0]
	ds_read2_b64 v[40:43], v9 offset0:104 offset1:230
	s_waitcnt vmcnt(3)
	v_pk_mul_f32 v[18:19], v[16:17], v[28:29] op_sel:[0,1]
	v_mov_b32_e32 v4, v31
	v_pk_fma_f32 v[52:53], v[16:17], v[28:29], v[18:19] op_sel:[0,0,1] op_sel_hi:[1,1,0] neg_lo:[0,0,1] neg_hi:[0,0,1]
	v_pk_fma_f32 v[54:55], v[16:17], v[28:29], v[18:19] op_sel:[0,0,1] op_sel_hi:[1,0,0]
	ds_read2_b64 v[16:19], v10 offset0:116 offset1:242
	s_waitcnt lgkmcnt(1)
	v_pk_mul_f32 v[44:45], v[42:43], v[4:5] op_sel_hi:[1,0]
	s_waitcnt vmcnt(2)
	v_mov_b32_e32 v4, v27
	v_pk_fma_f32 v[56:57], v[42:43], v[30:31], v[44:45] op_sel:[0,0,1] op_sel_hi:[1,1,0] neg_lo:[0,0,1] neg_hi:[0,0,1]
	v_pk_fma_f32 v[58:59], v[42:43], v[30:31], v[44:45] op_sel:[0,0,1] op_sel_hi:[1,0,0]
	s_waitcnt lgkmcnt(0)
	v_pk_mul_f32 v[42:43], v[18:19], v[24:25] op_sel:[0,1]
	v_mov_b32_e32 v49, v51
	v_pk_fma_f32 v[60:61], v[18:19], v[24:25], v[42:43] op_sel:[0,0,1] op_sel_hi:[1,1,0] neg_lo:[0,0,1] neg_hi:[0,0,1]
	v_pk_fma_f32 v[62:63], v[18:19], v[24:25], v[42:43] op_sel:[0,0,1] op_sel_hi:[1,0,0]
	v_pk_mul_f32 v[18:19], v[40:41], v[4:5] op_sel_hi:[1,0]
	s_waitcnt vmcnt(1)
	v_mov_b32_e32 v4, v23
	v_pk_fma_f32 v[64:65], v[40:41], v[26:27], v[18:19] op_sel:[0,0,1] op_sel_hi:[1,1,0] neg_lo:[0,0,1] neg_hi:[0,0,1]
	v_pk_fma_f32 v[66:67], v[40:41], v[26:27], v[18:19] op_sel:[0,0,1] op_sel_hi:[1,0,0]
	ds_read2_b64 v[40:43], v11 offset0:108 offset1:234
	v_pk_mul_f32 v[18:19], v[16:17], v[20:21] op_sel:[0,1]
	v_mov_b32_e32 v53, v55
	v_pk_fma_f32 v[68:69], v[16:17], v[20:21], v[18:19] op_sel:[0,0,1] op_sel_hi:[1,1,0] neg_lo:[0,0,1] neg_hi:[0,0,1]
	v_pk_fma_f32 v[70:71], v[16:17], v[20:21], v[18:19] op_sel:[0,0,1] op_sel_hi:[1,0,0]
	s_waitcnt lgkmcnt(0)
	v_pk_mul_f32 v[16:17], v[42:43], v[4:5] op_sel_hi:[1,0]
	s_waitcnt vmcnt(0)
	v_mov_b32_e32 v4, v15
	v_pk_fma_f32 v[72:73], v[42:43], v[22:23], v[16:17] op_sel:[0,0,1] op_sel_hi:[1,1,0] neg_lo:[0,0,1] neg_hi:[0,0,1]
	v_pk_fma_f32 v[74:75], v[42:43], v[22:23], v[16:17] op_sel:[0,0,1] op_sel_hi:[1,0,0]
	ds_read2_b64 v[16:19], v7 offset0:120 offset1:246
	v_pk_mul_f32 v[42:43], v[40:41], v[4:5] op_sel_hi:[1,0]
	v_mul_u32_u24_e32 v4, 18, v82
	v_pk_fma_f32 v[44:45], v[40:41], v[14:15], v[42:43] op_sel:[0,0,1] op_sel_hi:[1,1,0] neg_lo:[0,0,1] neg_hi:[0,0,1]
	v_pk_fma_f32 v[46:47], v[40:41], v[14:15], v[42:43] op_sel:[0,0,1] op_sel_hi:[1,0,0]
	ds_read2_b64 v[40:43], v132 offset1:126
	s_waitcnt lgkmcnt(1)
	v_pk_mul_f32 v[76:77], v[18:19], v[12:13] op_sel:[0,1]
	v_mov_b32_e32 v45, v47
	v_pk_fma_f32 v[78:79], v[18:19], v[12:13], v[76:77] op_sel:[0,0,1] op_sel_hi:[1,1,0] neg_lo:[0,0,1] neg_hi:[0,0,1]
	v_pk_fma_f32 v[18:19], v[18:19], v[12:13], v[76:77] op_sel:[0,0,1] op_sel_hi:[1,0,0]
	v_add_lshl_u32 v234, v4, v83, 3
	v_mov_b32_e32 v79, v19
	s_waitcnt lgkmcnt(0)
	v_pk_add_f32 v[18:19], v[40:41], v[78:79]
	v_pk_add_f32 v[46:47], v[78:79], v[44:45]
	v_pk_add_f32 v[18:19], v[18:19], v[44:45]
	v_pk_add_f32 v[44:45], v[78:79], v[44:45] neg_lo:[0,1] neg_hi:[0,1]
	v_pk_fma_f32 v[40:41], v[46:47], 0.5, v[40:41] op_sel_hi:[1,0,1] neg_lo:[1,0,0] neg_hi:[1,0,0]
	v_pk_mul_f32 v[44:45], v[44:45], s[2:3] op_sel_hi:[1,0]
	v_mov_b32_e32 v4, v35
	v_pk_add_f32 v[76:77], v[40:41], v[44:45] op_sel:[0,1] op_sel_hi:[1,0]
	v_pk_add_f32 v[40:41], v[40:41], v[44:45] op_sel:[0,1] op_sel_hi:[1,0] neg_lo:[0,1] neg_hi:[0,1]
	ds_read_b64 v[78:79], v132 offset:14112
	ds_read2_b64 v[44:47], v6 offset0:124 offset1:250
	v_mov_b32_e32 v82, v76
	v_mov_b32_e32 v83, v41
	s_waitcnt lgkmcnt(0)
	s_barrier
	ds_write2_b64 v234, v[18:19], v[82:83] offset1:6
	v_pk_mul_f32 v[18:19], v[78:79], v[4:5] op_sel_hi:[1,0]
	v_mov_b32_e32 v57, v59
	v_pk_fma_f32 v[50:51], v[78:79], v[34:35], v[18:19] op_sel:[0,0,1] op_sel_hi:[1,1,0] neg_lo:[0,0,1] neg_hi:[0,0,1]
	v_pk_fma_f32 v[18:19], v[78:79], v[34:35], v[18:19] op_sel:[0,0,1] op_sel_hi:[1,0,0]
	v_pk_add_f32 v[54:55], v[52:53], v[56:57]
	v_mov_b32_e32 v51, v19
	v_pk_add_f32 v[18:19], v[48:49], v[50:51]
	v_pk_add_f32 v[78:79], v[48:49], v[50:51] neg_lo:[0,1] neg_hi:[0,1]
	v_pk_add_f32 v[58:59], v[52:53], v[56:57] neg_lo:[0,1] neg_hi:[0,1]
	v_pk_fma_f32 v[18:19], v[18:19], 0.5, v[16:17] op_sel_hi:[1,0,1] neg_lo:[1,0,0] neg_hi:[1,0,0]
	v_pk_mul_f32 v[78:79], v[78:79], s[2:3] op_sel_hi:[1,0]
	v_pk_fma_f32 v[54:55], v[54:55], 0.5, v[46:47] op_sel_hi:[1,0,1] neg_lo:[1,0,0] neg_hi:[1,0,0]
	v_pk_mul_f32 v[58:59], v[58:59], s[2:3] op_sel_hi:[1,0]
	v_mov_b32_e32 v69, v71
	v_mov_b32_e32 v73, v75
	v_pk_add_f32 v[82:83], v[18:19], v[78:79] op_sel:[0,1] op_sel_hi:[1,0] neg_lo:[0,1] neg_hi:[0,1]
	v_pk_add_f32 v[18:19], v[18:19], v[78:79] op_sel:[0,1] op_sel_hi:[1,0]
	v_pk_add_f32 v[78:79], v[54:55], v[58:59] op_sel:[0,1] op_sel_hi:[1,0] neg_lo:[0,1] neg_hi:[0,1]
	v_pk_add_f32 v[54:55], v[54:55], v[58:59] op_sel:[0,1] op_sel_hi:[1,0]
	v_mov_b32_e32 v61, v63
	v_pk_add_f32 v[58:59], v[68:69], v[72:73]
	v_pk_add_f32 v[62:63], v[68:69], v[72:73] neg_lo:[0,1] neg_hi:[0,1]
	v_pk_fma_f32 v[58:59], v[58:59], 0.5, v[42:43] op_sel_hi:[1,0,1] neg_lo:[1,0,0] neg_hi:[1,0,0]
	v_pk_mul_f32 v[62:63], v[62:63], s[2:3] op_sel_hi:[1,0]
	v_mov_b32_e32 v65, v67
	v_pk_add_f32 v[42:43], v[42:43], v[68:69]
	v_mul_u32_u24_e32 v4, 18, v88
	v_pk_add_f32 v[66:67], v[58:59], v[62:63] op_sel:[0,1] op_sel_hi:[1,0]
	v_pk_add_f32 v[58:59], v[58:59], v[62:63] op_sel:[0,1] op_sel_hi:[1,0] neg_lo:[0,1] neg_hi:[0,1]
	v_mov_b32_e32 v41, v77
	v_add_lshl_u32 v238, v4, v89, 3
	v_pk_add_f32 v[42:43], v[42:43], v[72:73]
	v_mov_b32_e32 v62, v66
	v_mov_b32_e32 v63, v59
	ds_write_b64 v234, v[40:41] offset:96
	ds_write2_b64 v238, v[42:43], v[62:63] offset1:6
	v_pk_add_f32 v[42:43], v[60:61], v[64:65] neg_lo:[0,1] neg_hi:[0,1]
	v_mad_legacy_u16 v4, v37, 18, v39
	v_pk_add_f32 v[40:41], v[60:61], v[64:65]
	v_pk_mul_f32 v[42:43], v[42:43], s[2:3] op_sel_hi:[1,0]
	s_mov_b32 s3, 0xe38f
	v_lshlrev_b32_e32 v237, 3, v4
	v_pk_fma_f32 v[40:41], v[40:41], 0.5, v[44:45] op_sel_hi:[1,0,1] neg_lo:[1,0,0] neg_hi:[1,0,0]
	v_mul_u32_u24_sdwa v4, v112, s3 dst_sel:DWORD dst_unused:UNUSED_PAD src0_sel:WORD_0 src1_sel:DWORD
	v_pk_add_f32 v[62:63], v[40:41], v[42:43] op_sel:[0,1] op_sel_hi:[1,0] neg_lo:[0,1] neg_hi:[0,1]
	v_pk_add_f32 v[40:41], v[40:41], v[42:43] op_sel:[0,1] op_sel_hi:[1,0]
	v_pk_add_f32 v[42:43], v[44:45], v[60:61]
	v_lshrrev_b32_e32 v94, 20, v4
	v_mad_legacy_u16 v37, v84, 18, v85
	v_mov_b32_e32 v59, v67
	v_pk_add_f32 v[42:43], v[42:43], v[64:65]
	v_mov_b32_e32 v44, v40
	v_mov_b32_e32 v45, v63
	;; [unrolled: 1-line block ×3, first 2 shown]
	v_pk_add_f32 v[40:41], v[46:47], v[52:53]
	v_mul_lo_u16_e32 v4, 18, v94
	v_mad_legacy_u16 v39, v86, 18, v87
	v_lshlrev_b32_e32 v236, 3, v37
	ds_write_b64 v238, v[58:59] offset:96
	ds_write2_b64 v237, v[42:43], v[44:45] offset1:6
	v_pk_add_f32 v[40:41], v[40:41], v[56:57]
	v_mov_b32_e32 v42, v54
	v_mov_b32_e32 v43, v79
	v_pk_add_f32 v[16:17], v[16:17], v[48:49]
	v_sub_u16_e32 v95, v112, v4
	v_lshlrev_b32_e32 v235, 3, v39
	ds_write_b64 v237, v[62:63] offset:96
	ds_write2_b64 v236, v[40:41], v[42:43] offset1:6
	v_mov_b32_e32 v79, v55
	v_pk_add_f32 v[16:17], v[16:17], v[50:51]
	v_mov_b32_e32 v40, v18
	v_mov_b32_e32 v41, v83
	v_lshlrev_b16_e32 v4, 4, v95
	ds_write_b64 v236, v[78:79] offset:96
	ds_write2_b64 v235, v[16:17], v[40:41] offset1:6
	v_lshl_add_u64 v[16:17], s[0:1], 0, v[4:5]
	v_mul_u32_u24_sdwa v4, v38, s3 dst_sel:DWORD dst_unused:UNUSED_PAD src0_sel:WORD_0 src1_sel:DWORD
	v_lshrrev_b32_e32 v96, 20, v4
	v_mul_lo_u16_e32 v4, 18, v96
	v_sub_u16_e32 v97, v38, v4
	v_lshlrev_b16_e32 v4, 4, v97
	v_mov_b32_e32 v83, v19
	v_lshl_add_u64 v[18:19], s[0:1], 0, v[4:5]
	v_mul_u32_u24_sdwa v4, v36, s3 dst_sel:DWORD dst_unused:UNUSED_PAD src0_sel:WORD_0 src1_sel:DWORD
	v_lshrrev_b32_e32 v98, 20, v4
	v_mul_lo_u16_e32 v4, 18, v98
	v_sub_u16_e32 v99, v36, v4
	v_lshlrev_b16_e32 v4, 4, v99
	v_lshl_add_u64 v[36:37], s[0:1], 0, v[4:5]
	ds_write_b64 v235, v[82:83] offset:96
	s_waitcnt lgkmcnt(0)
	s_barrier
	global_load_dwordx4 v[52:55], v[36:37], off offset:128
	global_load_dwordx4 v[48:51], v[18:19], off offset:128
	global_load_dwordx4 v[44:47], v[16:17], off offset:128
	v_mov_b32_e32 v4, 57
	v_mul_lo_u16_sdwa v16, v110, v4 dst_sel:DWORD dst_unused:UNUSED_PAD src0_sel:BYTE_0 src1_sel:DWORD
	v_lshrrev_b16_e32 v100, 10, v16
	v_mul_lo_u16_e32 v16, 18, v100
	v_sub_u16_e32 v16, v110, v16
	v_mul_lo_u16_sdwa v4, v148, v4 dst_sel:DWORD dst_unused:UNUSED_PAD src0_sel:BYTE_0 src1_sel:DWORD
	v_and_b32_e32 v101, 0xff, v16
	v_lshrrev_b16_e32 v102, 10, v4
	v_lshlrev_b32_e32 v16, 4, v101
	v_mul_lo_u16_e32 v4, 18, v102
	global_load_dwordx4 v[56:59], v16, s[0:1] offset:128
	v_sub_u16_e32 v4, v148, v4
	v_and_b32_e32 v103, 0xff, v4
	v_lshlrev_b32_e32 v4, 4, v103
	global_load_dwordx4 v[64:67], v4, s[0:1] offset:128
	ds_read2_b64 v[16:19], v8 offset0:112 offset1:238
	s_waitcnt vmcnt(4) lgkmcnt(0)
	v_pk_mul_f32 v[36:37], v[18:19], v[52:53] op_sel:[0,1]
	s_nop 0
	v_pk_fma_f32 v[40:41], v[18:19], v[52:53], v[36:37] op_sel:[1,0,0] op_sel_hi:[0,1,1]
	v_pk_fma_f32 v[42:43], v[18:19], v[52:53], v[36:37] op_sel:[1,0,0] op_sel_hi:[0,0,1] neg_lo:[0,0,1] neg_hi:[0,0,1]
	ds_read2_b64 v[36:39], v9 offset0:104 offset1:230
	s_waitcnt vmcnt(3)
	v_pk_mul_f32 v[8:9], v[16:17], v[48:49] op_sel:[0,1]
	v_mov_b32_e32 v4, v51
	v_pk_fma_f32 v[60:61], v[16:17], v[48:49], v[8:9] op_sel:[0,0,1] op_sel_hi:[1,1,0] neg_lo:[0,0,1] neg_hi:[0,0,1]
	v_pk_fma_f32 v[62:63], v[16:17], v[48:49], v[8:9] op_sel:[0,0,1] op_sel_hi:[1,0,0]
	ds_read2_b64 v[16:19], v10 offset0:116 offset1:242
	s_waitcnt lgkmcnt(1)
	v_pk_mul_f32 v[8:9], v[38:39], v[4:5] op_sel_hi:[1,0]
	s_waitcnt vmcnt(2)
	v_mov_b32_e32 v4, v47
	v_pk_fma_f32 v[68:69], v[38:39], v[50:51], v[8:9] op_sel:[0,0,1] op_sel_hi:[1,1,0] neg_lo:[0,0,1] neg_hi:[0,0,1]
	v_pk_fma_f32 v[38:39], v[38:39], v[50:51], v[8:9] op_sel:[0,0,1] op_sel_hi:[1,0,0]
	v_pk_mul_f32 v[8:9], v[36:37], v[4:5] op_sel_hi:[1,0]
	s_waitcnt vmcnt(1)
	v_mov_b32_e32 v4, v59
	v_pk_fma_f32 v[70:71], v[36:37], v[46:47], v[8:9] op_sel:[0,0,1] op_sel_hi:[1,1,0] neg_lo:[0,0,1] neg_hi:[0,0,1]
	v_pk_fma_f32 v[36:37], v[36:37], v[46:47], v[8:9] op_sel:[0,0,1] op_sel_hi:[1,0,0]
	s_waitcnt lgkmcnt(0)
	v_pk_mul_f32 v[8:9], v[18:19], v[44:45] op_sel:[0,1]
	v_mov_b32_e32 v71, v37
	v_pk_fma_f32 v[72:73], v[18:19], v[44:45], v[8:9] op_sel:[0,0,1] op_sel_hi:[1,1,0] neg_lo:[0,0,1] neg_hi:[0,0,1]
	v_pk_fma_f32 v[74:75], v[18:19], v[44:45], v[8:9] op_sel:[0,0,1] op_sel_hi:[1,0,0]
	ds_read2_b64 v[8:11], v11 offset0:108 offset1:234
	v_pk_mul_f32 v[18:19], v[16:17], v[56:57] op_sel:[0,1]
	v_mov_b32_e32 v73, v75
	v_pk_fma_f32 v[76:77], v[16:17], v[56:57], v[18:19] op_sel:[0,0,1] op_sel_hi:[1,1,0] neg_lo:[0,0,1] neg_hi:[0,0,1]
	v_pk_fma_f32 v[78:79], v[16:17], v[56:57], v[18:19] op_sel:[0,0,1] op_sel_hi:[1,0,0]
	s_waitcnt lgkmcnt(0)
	v_pk_mul_f32 v[16:17], v[10:11], v[4:5] op_sel_hi:[1,0]
	s_waitcnt vmcnt(0)
	v_mov_b32_e32 v4, v67
	v_pk_fma_f32 v[82:83], v[10:11], v[58:59], v[16:17] op_sel:[0,0,1] op_sel_hi:[1,1,0] neg_lo:[0,0,1] neg_hi:[0,0,1]
	v_pk_fma_f32 v[84:85], v[10:11], v[58:59], v[16:17] op_sel:[0,0,1] op_sel_hi:[1,0,0]
	ds_read2_b64 v[16:19], v7 offset0:120 offset1:246
	v_pk_mul_f32 v[10:11], v[8:9], v[4:5] op_sel_hi:[1,0]
	v_mul_u32_u24_e32 v4, 54, v102
	v_pk_fma_f32 v[86:87], v[8:9], v[66:67], v[10:11] op_sel:[0,0,1] op_sel_hi:[1,1,0] neg_lo:[0,0,1] neg_hi:[0,0,1]
	v_pk_fma_f32 v[88:89], v[8:9], v[66:67], v[10:11] op_sel:[0,0,1] op_sel_hi:[1,0,0]
	ds_read2_b64 v[8:11], v132 offset1:126
	s_waitcnt lgkmcnt(1)
	v_pk_mul_f32 v[90:91], v[18:19], v[64:65] op_sel:[0,1]
	v_mov_b32_e32 v87, v89
	v_pk_fma_f32 v[92:93], v[18:19], v[64:65], v[90:91] op_sel:[0,0,1] op_sel_hi:[1,1,0] neg_lo:[0,0,1] neg_hi:[0,0,1]
	v_pk_fma_f32 v[18:19], v[18:19], v[64:65], v[90:91] op_sel:[0,0,1] op_sel_hi:[1,0,0]
	v_add_lshl_u32 v239, v4, v103, 3
	v_mov_b32_e32 v93, v19
	s_waitcnt lgkmcnt(0)
	v_pk_add_f32 v[18:19], v[8:9], v[92:93]
	v_pk_add_f32 v[88:89], v[92:93], v[86:87]
	;; [unrolled: 1-line block ×3, first 2 shown]
	v_pk_add_f32 v[86:87], v[92:93], v[86:87] neg_lo:[0,1] neg_hi:[0,1]
	v_pk_fma_f32 v[8:9], v[88:89], 0.5, v[8:9] op_sel_hi:[1,0,1] neg_lo:[1,0,0] neg_hi:[1,0,0]
	v_pk_mul_f32 v[86:87], v[86:87], s[2:3] op_sel_hi:[1,0]
	v_mov_b32_e32 v77, v79
	v_pk_add_f32 v[88:89], v[8:9], v[86:87] op_sel:[0,1] op_sel_hi:[1,0]
	v_pk_add_f32 v[86:87], v[8:9], v[86:87] op_sel:[0,1] op_sel_hi:[1,0] neg_lo:[0,1] neg_hi:[0,1]
	v_mov_b32_e32 v92, v88
	v_mov_b32_e32 v93, v87
	;; [unrolled: 1-line block ×3, first 2 shown]
	ds_read_b64 v[90:91], v132 offset:14112
	ds_read2_b64 v[6:9], v6 offset0:124 offset1:250
	s_waitcnt lgkmcnt(0)
	s_barrier
	ds_write2_b64 v239, v[18:19], v[92:93] offset1:18
	v_pk_add_f32 v[18:19], v[76:77], v[82:83]
	v_mul_u32_u24_e32 v4, 54, v100
	v_pk_fma_f32 v[18:19], v[18:19], 0.5, v[10:11] op_sel_hi:[1,0,1] neg_lo:[1,0,0] neg_hi:[1,0,0]
	v_pk_add_f32 v[10:11], v[10:11], v[76:77]
	v_pk_add_f32 v[76:77], v[76:77], v[82:83] neg_lo:[0,1] neg_hi:[0,1]
	v_mov_b32_e32 v87, v89
	v_pk_mul_f32 v[76:77], v[76:77], s[2:3] op_sel_hi:[1,0]
	v_pk_add_f32 v[10:11], v[10:11], v[82:83]
	v_pk_add_f32 v[78:79], v[18:19], v[76:77] op_sel:[0,1] op_sel_hi:[1,0]
	v_pk_add_f32 v[18:19], v[18:19], v[76:77] op_sel:[0,1] op_sel_hi:[1,0] neg_lo:[0,1] neg_hi:[0,1]
	v_add_lshl_u32 v240, v4, v101, 3
	v_mov_b32_e32 v76, v78
	v_mov_b32_e32 v77, v19
	ds_write_b64 v239, v[86:87] offset:288
	ds_write2_b64 v240, v[10:11], v[76:77] offset1:18
	v_pk_add_f32 v[10:11], v[72:73], v[70:71]
	v_pk_add_f32 v[36:37], v[72:73], v[70:71] neg_lo:[0,1] neg_hi:[0,1]
	v_pk_fma_f32 v[10:11], v[10:11], 0.5, v[6:7] op_sel_hi:[1,0,1] neg_lo:[1,0,0] neg_hi:[1,0,0]
	v_pk_mul_f32 v[36:37], v[36:37], s[2:3] op_sel_hi:[1,0]
	v_mov_b32_e32 v19, v79
	v_pk_add_f32 v[74:75], v[10:11], v[36:37] op_sel:[0,1] op_sel_hi:[1,0] neg_lo:[0,1] neg_hi:[0,1]
	v_pk_add_f32 v[10:11], v[10:11], v[36:37] op_sel:[0,1] op_sel_hi:[1,0]
	v_pk_add_f32 v[6:7], v[6:7], v[72:73]
	v_mad_legacy_u16 v4, v94, 54, v95
	ds_write_b64 v240, v[18:19] offset:288
	v_pk_add_f32 v[6:7], v[6:7], v[70:71]
	v_lshlrev_b32_e32 v241, 3, v4
	v_mov_b32_e32 v18, v10
	v_mov_b32_e32 v19, v75
	;; [unrolled: 1-line block ×3, first 2 shown]
	ds_write2_b64 v241, v[6:7], v[18:19] offset1:18
	v_pk_mul_f32 v[6:7], v[90:91], v[4:5] op_sel_hi:[1,0]
	v_mov_b32_e32 v41, v43
	v_pk_fma_f32 v[18:19], v[90:91], v[54:55], v[6:7] op_sel:[1,0,0] op_sel_hi:[0,1,1]
	v_pk_fma_f32 v[6:7], v[90:91], v[54:55], v[6:7] op_sel:[1,0,0] op_sel_hi:[0,0,1] neg_lo:[0,0,1] neg_hi:[0,0,1]
	v_mov_b32_e32 v19, v7
	v_mov_b32_e32 v36, v43
	;; [unrolled: 1-line block ×5, first 2 shown]
	v_pk_add_f32 v[18:19], v[40:41], v[18:19] neg_lo:[0,1] neg_hi:[0,1]
	v_pk_add_f32 v[40:41], v[36:37], v[6:7]
	v_mov_b32_e32 v61, v63
	v_pk_fma_f32 v[40:41], v[40:41], 0.5, v[16:17] op_sel_hi:[1,0,1] neg_lo:[1,0,0] neg_hi:[1,0,0]
	v_mov_b32_e32 v69, v39
	v_pk_fma_f32 v[114:115], v[18:19], s[2:3], v[40:41] op_sel_hi:[1,0,1] neg_lo:[1,0,0] neg_hi:[1,0,0]
	v_pk_fma_f32 v[116:117], v[18:19], s[2:3], v[40:41] op_sel_hi:[1,0,1]
	v_pk_add_f32 v[18:19], v[60:61], v[68:69]
	v_pk_add_f32 v[38:39], v[60:61], v[68:69] neg_lo:[0,1] neg_hi:[0,1]
	v_pk_fma_f32 v[18:19], v[18:19], 0.5, v[8:9] op_sel_hi:[1,0,1] neg_lo:[1,0,0] neg_hi:[1,0,0]
	v_pk_mul_f32 v[38:39], v[38:39], s[2:3] op_sel_hi:[1,0]
	v_pk_add_f32 v[8:9], v[8:9], v[60:61]
	v_pk_add_f32 v[40:41], v[18:19], v[38:39] op_sel:[0,1] op_sel_hi:[1,0] neg_lo:[0,1] neg_hi:[0,1]
	v_pk_add_f32 v[18:19], v[18:19], v[38:39] op_sel:[0,1] op_sel_hi:[1,0]
	v_mad_legacy_u16 v4, v96, 54, v97
	v_mov_b32_e32 v75, v11
	v_lshlrev_b32_e32 v242, 3, v4
	v_pk_add_f32 v[8:9], v[8:9], v[68:69]
	v_mov_b32_e32 v10, v18
	v_mov_b32_e32 v11, v41
	ds_write_b64 v241, v[74:75] offset:288
	ds_write2_b64 v242, v[8:9], v[10:11] offset1:18
	v_mad_legacy_u16 v4, v98, 54, v99
	v_pk_add_f32 v[8:9], v[16:17], v[36:37]
	v_mov_b32_e32 v41, v19
	v_lshlrev_b32_e32 v243, 3, v4
	v_pk_add_f32 v[6:7], v[8:9], v[6:7]
	v_mov_b32_e32 v8, v116
	v_mov_b32_e32 v9, v115
	;; [unrolled: 1-line block ×3, first 2 shown]
	v_add_u32_e32 v4, 0x1000, v132
	ds_write_b64 v242, v[40:41] offset:288
	ds_write2_b64 v243, v[6:7], v[8:9] offset1:18
	ds_write_b64 v243, v[114:115] offset:288
	s_waitcnt lgkmcnt(0)
	s_barrier
	v_add_u32_e32 v6, 0x1800, v132
	v_add_u32_e32 v7, 0x2000, v132
	;; [unrolled: 1-line block ×5, first 2 shown]
	ds_read2_b64 v[98:101], v4 offset0:28 offset1:154
	ds_read2_b64 v[94:97], v6 offset0:42 offset1:168
	;; [unrolled: 1-line block ×6, first 2 shown]
	ds_read2_b64 v[82:85], v132 offset1:126
	v_cmp_gt_u16_e64 s[2:3], 18, v148
                                        ; implicit-def: $vgpr116
	s_and_saveexec_b64 s[16:17], s[2:3]
	s_cbranch_execz .LBB0_9
; %bb.8:
	ds_read_b64 v[114:115], v132 offset:2016
	ds_read_b64 v[80:81], v132 offset:4176
	;; [unrolled: 1-line block ×7, first 2 shown]
	s_waitcnt lgkmcnt(6)
	v_mov_b32_e32 v117, v115
	s_waitcnt lgkmcnt(3)
	v_mov_b32_e32 v116, v121
	;; [unrolled: 2-line block ×5, first 2 shown]
	v_mov_b32_e32 v170, v129
.LBB0_9:
	s_or_b64 exec, exec, s[16:17]
	v_mov_b32_e32 v4, 19
	v_mul_lo_u16_sdwa v6, v148, v4 dst_sel:DWORD dst_unused:UNUSED_PAD src0_sel:BYTE_0 src1_sel:DWORD
	v_mul_lo_u16_sdwa v4, v110, v4 dst_sel:DWORD dst_unused:UNUSED_PAD src0_sel:BYTE_0 src1_sel:DWORD
	v_lshrrev_b16_e32 v194, 10, v4
	v_mul_lo_u16_e32 v4, 54, v194
	v_sub_u16_e32 v4, v110, v4
	v_and_b32_e32 v195, 0xff, v4
	v_lshrrev_b16_e32 v4, 1, v112
	v_mul_u32_u24_e32 v4, 0x97b5, v4
	v_lshrrev_b16_e32 v113, 10, v6
	v_lshrrev_b32_e32 v4, 20, v4
	v_mul_lo_u16_e32 v6, 54, v113
	v_mul_lo_u16_e32 v4, 54, v4
	v_sub_u16_e32 v6, v148, v6
	v_sub_u16_e32 v196, v112, v4
	v_and_b32_e32 v183, 0xff, v6
	v_mul_lo_u16_e32 v4, 48, v196
	v_mad_u64_u32 v[6:7], s[16:17], v183, 48, s[0:1]
	v_mad_u64_u32 v[8:9], s[16:17], v195, 48, s[0:1]
	v_lshl_add_u64 v[16:17], s[0:1], 0, v[4:5]
	global_load_dwordx4 v[72:75], v[6:7], off offset:432
	global_load_dwordx4 v[60:63], v[6:7], off offset:416
	;; [unrolled: 1-line block ×6, first 2 shown]
	s_nop 0
	global_load_dwordx4 v[8:11], v[16:17], off offset:416
	global_load_dwordx4 v[4:7], v[16:17], off offset:432
	s_nop 0
	global_load_dwordx4 v[16:19], v[16:17], off offset:448
	v_mov_b32_e32 v115, v117
	s_mov_b32 s28, 0x3d64c772
	s_mov_b32 s22, 0x3f4a47b2
	;; [unrolled: 1-line block ×8, first 2 shown]
	s_waitcnt lgkmcnt(0)
	s_barrier
	s_waitcnt vmcnt(6)
	v_mul_f32_e32 v185, v93, v37
	v_mul_f32_e32 v131, v95, v72
	s_waitcnt vmcnt(5)
	v_mul_f32_e32 v119, v97, v76
	v_mul_f32_e32 v125, v103, v74
	;; [unrolled: 3-line block ×3, first 2 shown]
	v_mul_f32_e32 v123, v104, v79
	s_waitcnt vmcnt(3)
	v_mul_f32_e32 v184, v101, v43
	s_waitcnt vmcnt(2)
	v_pk_mul_f32 v[172:173], v[80:81], v[8:9] op_sel:[1,0]
	v_pk_mul_f32 v[170:171], v[170:171], v[10:11] op_sel_hi:[0,1]
	s_waitcnt vmcnt(0)
	v_pk_mul_f32 v[176:177], v[118:119], v[16:17] op_sel_hi:[0,1]
	v_pk_mul_f32 v[178:179], v[130:131], v[18:19] op_sel_hi:[0,1]
	v_mul_f32_e32 v127, v102, v75
	v_mul_f32_e32 v121, v105, v78
	v_pk_mul_f32 v[174:175], v[116:117], v[4:5] op_sel_hi:[0,1]
	v_pk_mul_f32 v[168:169], v[168:169], v[6:7] op_sel_hi:[0,1]
	v_fma_f32 v180, v90, v68, -v129
	v_fma_f32 v118, v100, v42, -v184
	;; [unrolled: 1-line block ×3, first 2 shown]
	v_pk_fma_f32 v[184:185], v[80:81], v[8:9], v[172:173] op_sel:[0,0,1] op_sel_hi:[1,1,0] neg_lo:[0,0,1] neg_hi:[0,0,1]
	v_pk_fma_f32 v[80:81], v[80:81], v[8:9], v[172:173] op_sel:[0,0,1] op_sel_hi:[0,1,0]
	v_pk_fma_f32 v[172:173], v[128:129], v[10:11], v[170:171] op_sel:[0,0,1] op_sel_hi:[1,1,0] neg_lo:[0,0,1] neg_hi:[0,0,1]
	v_pk_fma_f32 v[128:129], v[128:129], v[10:11], v[170:171] op_sel:[0,0,1] op_sel_hi:[0,1,0]
	;; [unrolled: 2-line block ×6, first 2 shown]
	v_mov_b32_e32 v185, v81
	v_mov_b32_e32 v173, v129
	;; [unrolled: 1-line block ×6, first 2 shown]
	v_pk_add_f32 v[80:81], v[184:185], v[190:191]
	v_pk_add_f32 v[168:169], v[172:173], v[188:189]
	;; [unrolled: 1-line block ×4, first 2 shown]
	v_pk_add_f32 v[128:129], v[184:185], v[190:191] neg_lo:[0,1] neg_hi:[0,1]
	v_pk_add_f32 v[172:173], v[172:173], v[188:189] neg_lo:[0,1] neg_hi:[0,1]
	;; [unrolled: 1-line block ×4, first 2 shown]
	v_mov_b32_e32 v191, v175
	v_mov_b32_e32 v190, v176
	;; [unrolled: 1-line block ×3, first 2 shown]
	v_pk_add_f32 v[168:169], v[174:175], v[168:169] neg_lo:[0,1] neg_hi:[0,1]
	v_pk_add_f32 v[184:185], v[80:81], v[174:175] neg_lo:[0,1] neg_hi:[0,1]
	v_pk_add_f32 v[80:81], v[170:171], v[172:173] op_sel:[1,1] op_sel_hi:[0,0]
	v_pk_add_f32 v[186:187], v[128:129], v[170:171] op_sel:[1,1] op_sel_hi:[0,0] neg_lo:[0,1] neg_hi:[0,1]
	v_pk_add_f32 v[176:177], v[190:191], v[176:177]
	v_pk_mul_f32 v[168:169], v[168:169], s[28:29] op_sel_hi:[1,0]
	v_pk_add_f32 v[170:171], v[170:171], v[172:173] op_sel:[1,1] op_sel_hi:[0,0] neg_lo:[0,1] neg_hi:[0,1]
	v_pk_add_f32 v[188:189], v[172:173], v[128:129] op_sel:[1,1] op_sel_hi:[0,0] neg_lo:[0,1] neg_hi:[0,1]
	v_pk_add_f32 v[128:129], v[80:81], v[128:129] op_sel:[0,1] op_sel_hi:[1,0]
	v_pk_mul_f32 v[192:193], v[184:185], s[22:23] op_sel_hi:[1,0]
	v_pk_add_f32 v[80:81], v[114:115], v[176:177]
	v_pk_fma_f32 v[174:175], v[184:185], s[22:23], v[168:169] op_sel_hi:[1,0,1]
	v_pk_fma_f32 v[168:169], v[178:179], s[18:19], v[168:169] op_sel_hi:[1,0,1] neg_lo:[0,0,1] neg_hi:[0,0,1]
	v_pk_mul_f32 v[170:171], v[170:171], s[30:31] op_sel_hi:[1,0]
	v_pk_mul_f32 v[114:115], v[128:129], s[16:17] op_sel_hi:[1,0]
	;; [unrolled: 1-line block ×3, first 2 shown]
	v_pk_fma_f32 v[176:177], v[176:177], s[20:21], v[80:81] op_sel_hi:[1,0,1] neg_lo:[1,0,0] neg_hi:[1,0,0]
	v_mov_b32_e32 v184, v175
	v_mov_b32_e32 v185, v168
	v_pk_fma_f32 v[178:179], v[178:179], s[18:19], v[192:193] op_sel_hi:[1,0,1] neg_lo:[1,0,1] neg_hi:[1,0,1]
	v_pk_fma_f32 v[172:173], v[188:189], s[24:25], v[170:171] op_sel_hi:[1,0,1] neg_lo:[0,0,1] neg_hi:[0,0,1]
	v_pk_fma_f32 v[170:171], v[186:187], s[26:27], v[170:171] op_sel_hi:[1,0,1]
	v_mov_b32_e32 v189, v172
	v_mov_b32_e32 v188, v171
	v_pk_fma_f32 v[186:187], v[186:187], s[26:27], v[190:191] op_sel_hi:[1,0,1] neg_lo:[1,0,1] neg_hi:[1,0,1]
	v_pk_add_f32 v[190:191], v[178:179], v[176:177]
	v_pk_add_f32 v[184:185], v[184:185], v[176:177] op_sel:[0,1] op_sel_hi:[1,0]
	v_mov_b32_e32 v179, v177
	v_mov_b32_e32 v175, v173
	;; [unrolled: 1-line block ×3, first 2 shown]
	v_mul_f32_e32 v111, v99, v63
	v_mov_b32_e32 v178, v114
	v_mov_b32_e32 v171, v169
	v_pk_add_f32 v[174:175], v[174:175], v[176:177]
	v_pk_add_f32 v[114:115], v[114:115], v[188:189] op_sel:[1,0] op_sel_hi:[0,1]
	v_fma_f32 v130, v98, v62, -v111
	v_pk_add_f32 v[168:169], v[178:179], v[170:171]
	v_pk_fma_f32 v[128:129], v[128:129], s[16:17], v[186:187] op_sel_hi:[1,0,1]
	v_mov_b32_e32 v111, v184
	v_mov_b32_e32 v170, v174
	;; [unrolled: 1-line block ×5, first 2 shown]
	v_pk_add_f32 v[178:179], v[110:111], v[170:171] neg_lo:[0,1] neg_hi:[0,1]
	v_pk_add_f32 v[188:189], v[190:191], v[128:129]
	v_pk_add_f32 v[170:171], v[190:191], v[128:129] neg_lo:[0,1] neg_hi:[0,1]
	v_pk_add_f32 v[176:177], v[120:121], v[122:123]
	;; [unrolled: 2-line block ×3, first 2 shown]
	v_mov_b32_e32 v177, v129
	v_pk_mul_f32 v[128:129], v[106:107], v[60:61] op_sel_hi:[1,0]
	v_pk_add_f32 v[168:169], v[174:175], v[168:169] neg_lo:[0,1] neg_hi:[0,1]
	v_pk_add_f32 v[174:175], v[184:185], v[114:115]
	v_pk_add_f32 v[114:115], v[184:185], v[114:115] neg_lo:[0,1] neg_hi:[0,1]
	v_pk_fma_f32 v[184:185], v[106:107], v[60:61], v[128:129] op_sel:[0,1,1] op_sel_hi:[1,1,0]
	v_pk_fma_f32 v[106:107], v[106:107], v[60:61], v[128:129] op_sel:[0,1,1] op_sel_hi:[1,1,0] neg_lo:[1,0,0] neg_hi:[1,0,0]
	v_mov_b32_e32 v128, v99
	v_mov_b32_e32 v129, v102
	;; [unrolled: 1-line block ×9, first 2 shown]
	v_pk_mul_f32 v[98:99], v[98:99], v[102:103]
	v_mul_f32_e32 v181, v94, v73
	v_pk_fma_f32 v[102:103], v[128:129], v[62:63], v[98:99]
	v_pk_fma_f32 v[98:99], v[128:129], v[186:187], v[98:99] neg_lo:[0,0,1] neg_hi:[0,0,1]
	v_mov_b32_e32 v128, v91
	v_mov_b32_e32 v129, v94
	;; [unrolled: 1-line block ×7, first 2 shown]
	v_pk_mul_f32 v[90:91], v[90:91], v[94:95]
	v_mov_b32_e32 v185, v107
	v_pk_fma_f32 v[94:95], v[128:129], v[68:69], v[90:91]
	v_pk_fma_f32 v[90:91], v[128:129], v[186:187], v[90:91] neg_lo:[0,0,1] neg_hi:[0,0,1]
	v_pk_mul_f32 v[128:129], v[86:87], v[70:71] op_sel_hi:[1,0]
	v_mov_b32_e32 v90, v71
	v_pk_fma_f32 v[186:187], v[86:87], v[90:91], v[128:129] op_sel:[0,0,1] op_sel_hi:[1,0,0]
	v_pk_fma_f32 v[86:87], v[86:87], v[90:91], v[128:129] op_sel:[0,0,1] op_sel_hi:[1,0,0] neg_lo:[1,0,0] neg_hi:[1,0,0]
	v_mov_b32_e32 v103, v99
	v_mov_b32_e32 v95, v91
	;; [unrolled: 1-line block ×6, first 2 shown]
	v_pk_add_f32 v[114:115], v[130:131], v[180:181]
	v_pk_add_f32 v[128:129], v[184:185], v[186:187]
	v_pk_add_f32 v[184:185], v[184:185], v[186:187] neg_lo:[0,1] neg_hi:[0,1]
	v_pk_add_f32 v[186:187], v[102:103], v[94:95]
	v_pk_add_f32 v[86:87], v[124:125], v[126:127]
	v_pk_add_f32 v[94:95], v[102:103], v[94:95] neg_lo:[0,1] neg_hi:[0,1]
	v_mov_b32_e32 v102, v87
	v_mov_b32_e32 v103, v130
	;; [unrolled: 1-line block ×8, first 2 shown]
	v_pk_add_f32 v[102:103], v[102:103], v[106:107] neg_lo:[0,1] neg_hi:[0,1]
	v_pk_add_f32 v[180:181], v[114:115], v[86:87]
	v_pk_add_f32 v[90:91], v[90:91], v[98:99]
	v_mov_b32_e32 v126, v102
	v_mov_b32_e32 v127, v185
	;; [unrolled: 1-line block ×9, first 2 shown]
	v_pk_add_f32 v[126:127], v[126:127], v[94:95] neg_lo:[0,1] neg_hi:[0,1]
	s_mov_b32 s31, s26
	v_pk_add_f32 v[98:99], v[98:99], v[114:115] neg_lo:[0,1] neg_hi:[0,1]
	v_mov_b32_e32 v87, v181
	v_mov_b32_e32 v188, v90
	;; [unrolled: 1-line block ×3, first 2 shown]
	v_pk_add_f32 v[90:91], v[180:181], v[90:91]
	s_mov_b32 s29, s22
	v_pk_add_f32 v[106:107], v[106:107], v[102:103] neg_lo:[0,1] neg_hi:[0,1]
	s_mov_b32 s27, s30
	v_pk_mul_f32 v[126:127], v[126:127], s[30:31]
	v_pk_add_f32 v[130:131], v[94:95], v[102:103]
	v_pk_add_f32 v[188:189], v[86:87], v[188:189] neg_lo:[0,1] neg_hi:[0,1]
	v_pk_add_f32 v[82:83], v[82:83], v[90:91]
	v_pk_mul_f32 v[98:99], v[98:99], s[28:29]
	s_mov_b32 s23, s28
	v_pk_mul_f32 v[124:125], v[106:107], s[26:27]
	v_pk_add_f32 v[130:131], v[130:131], v[184:185]
	v_pk_mul_f32 v[180:181], v[188:189], s[22:23]
	v_pk_fma_f32 v[90:91], v[90:91], s[20:21], v[82:83] op_sel_hi:[1,0,1] neg_lo:[1,0,0] neg_hi:[1,0,0]
	v_pk_fma_f32 v[188:189], v[188:189], s[22:23], v[98:99]
	v_pk_fma_f32 v[106:107], v[106:107], s[26:27], v[126:127]
	v_pk_add_f32 v[188:189], v[188:189], v[90:91]
	v_pk_fma_f32 v[106:107], v[130:131], s[16:17], v[106:107] op_sel_hi:[1,0,1]
	v_mul_u32_u24_e32 v111, 0x17a, v113
	v_pk_add_f32 v[190:191], v[188:189], v[106:107]
	v_pk_add_f32 v[106:107], v[188:189], v[106:107] neg_lo:[0,1] neg_hi:[0,1]
	v_add_lshl_u32 v245, v111, v183, 3
	v_mov_b32_e32 v188, v190
	v_mov_b32_e32 v189, v107
	;; [unrolled: 1-line block ×5, first 2 shown]
	ds_write2_b64 v245, v[82:83], v[188:189] offset1:54
	v_pk_add_f32 v[82:83], v[94:95], v[184:185] neg_lo:[0,1] neg_hi:[0,1]
	v_pk_add_f32 v[86:87], v[114:115], v[86:87] neg_lo:[0,1] neg_hi:[0,1]
	v_mov_b32_e32 v94, v180
	v_mov_b32_e32 v95, v99
	;; [unrolled: 1-line block ×6, first 2 shown]
	v_pk_fma_f32 v[94:95], v[86:87], s[18:19], v[94:95] op_sel_hi:[1,0,1] neg_lo:[1,0,1] neg_hi:[1,0,1]
	v_pk_fma_f32 v[102:103], v[82:83], s[24:25], v[102:103] op_sel_hi:[1,0,1] neg_lo:[1,0,1] neg_hi:[1,0,1]
	;; [unrolled: 1-line block ×4, first 2 shown]
	v_pk_add_f32 v[94:95], v[94:95], v[90:91]
	v_pk_fma_f32 v[102:103], v[130:131], s[16:17], v[102:103] op_sel_hi:[1,0,1]
	v_pk_add_f32 v[86:87], v[86:87], v[90:91]
	v_pk_fma_f32 v[82:83], v[130:131], s[16:17], v[82:83] op_sel_hi:[1,0,1]
	v_pk_add_f32 v[114:115], v[94:95], v[102:103]
	v_pk_add_f32 v[94:95], v[94:95], v[102:103] neg_lo:[0,1] neg_hi:[0,1]
	v_pk_add_f32 v[90:91], v[86:87], v[82:83] neg_lo:[0,1] neg_hi:[0,1]
	v_pk_add_f32 v[82:83], v[86:87], v[82:83]
	v_mov_b32_e32 v102, v114
	v_mov_b32_e32 v103, v95
	;; [unrolled: 1-line block ×4, first 2 shown]
	ds_write2_b64 v245, v[102:103], v[86:87] offset0:108 offset1:162
	v_mov_b32_e32 v83, v91
	v_mov_b32_e32 v95, v115
	v_add_u32_e32 v86, 0x400, v245
	ds_write2_b64 v86, v[82:83], v[94:95] offset0:88 offset1:142
	v_mov_b32_e32 v94, v101
	v_mov_b32_e32 v101, v105
	;; [unrolled: 1-line block ×7, first 2 shown]
	v_pk_mul_f32 v[100:101], v[100:101], v[102:103]
	v_pk_mul_f32 v[86:87], v[108:109], v[40:41] op_sel_hi:[1,0]
	v_pk_fma_f32 v[102:103], v[94:95], v[42:43], v[100:101]
	v_pk_fma_f32 v[94:95], v[94:95], v[98:99], v[100:101] neg_lo:[0,0,1] neg_hi:[0,0,1]
	v_mov_b32_e32 v98, v93
	v_mov_b32_e32 v99, v96
	;; [unrolled: 1-line block ×5, first 2 shown]
	v_pk_fma_f32 v[90:91], v[108:109], v[40:41], v[86:87] op_sel:[0,1,1] op_sel_hi:[1,1,0]
	v_pk_fma_f32 v[86:87], v[108:109], v[40:41], v[86:87] op_sel:[0,1,1] op_sel_hi:[1,1,0] neg_lo:[1,0,0] neg_hi:[1,0,0]
	v_mov_b32_e32 v100, v36
	v_mov_b32_e32 v101, v76
	v_pk_mul_f32 v[92:93], v[92:93], v[96:97]
	v_mov_b32_e32 v86, v39
	v_pk_fma_f32 v[96:97], v[98:99], v[36:37], v[92:93]
	v_pk_fma_f32 v[92:93], v[98:99], v[100:101], v[92:93] neg_lo:[0,0,1] neg_hi:[0,0,1]
	v_pk_mul_f32 v[98:99], v[88:89], v[38:39] op_sel_hi:[1,0]
	v_mul_u32_u24_e32 v82, 0x17a, v194
	v_pk_fma_f32 v[100:101], v[88:89], v[86:87], v[98:99] op_sel:[0,0,1] op_sel_hi:[1,0,0]
	v_pk_fma_f32 v[88:89], v[88:89], v[86:87], v[98:99] op_sel:[0,0,1] op_sel_hi:[1,0,0] neg_lo:[1,0,0] neg_hi:[1,0,0]
	v_mov_b32_e32 v91, v87
	v_mov_b32_e32 v103, v95
	;; [unrolled: 1-line block ×6, first 2 shown]
	v_add_lshl_u32 v246, v82, v195, 3
	v_pk_add_f32 v[82:83], v[118:119], v[116:117]
	v_pk_add_f32 v[98:99], v[90:91], v[100:101]
	v_pk_add_f32 v[90:91], v[90:91], v[100:101] neg_lo:[0,1] neg_hi:[0,1]
	v_pk_add_f32 v[100:101], v[102:103], v[96:97]
	v_pk_add_f32 v[86:87], v[120:121], v[122:123]
	v_pk_add_f32 v[96:97], v[102:103], v[96:97] neg_lo:[0,1] neg_hi:[0,1]
	v_mov_b32_e32 v88, v87
	v_mov_b32_e32 v89, v118
	;; [unrolled: 1-line block ×9, first 2 shown]
	v_pk_add_f32 v[88:89], v[88:89], v[102:103] neg_lo:[0,1] neg_hi:[0,1]
	v_pk_add_f32 v[114:115], v[82:83], v[86:87]
	v_pk_add_f32 v[92:93], v[92:93], v[94:95]
	ds_write_b64 v245, v[106:107] offset:2592
	v_mov_b32_e32 v106, v88
	v_mov_b32_e32 v107, v91
	;; [unrolled: 1-line block ×6, first 2 shown]
	v_pk_add_f32 v[106:107], v[106:107], v[96:97] neg_lo:[0,1] neg_hi:[0,1]
	v_pk_add_f32 v[94:95], v[94:95], v[82:83] neg_lo:[0,1] neg_hi:[0,1]
	v_mov_b32_e32 v87, v115
	v_mov_b32_e32 v116, v92
	;; [unrolled: 1-line block ×3, first 2 shown]
	v_pk_add_f32 v[92:93], v[114:115], v[92:93]
	v_pk_add_f32 v[102:103], v[102:103], v[88:89] neg_lo:[0,1] neg_hi:[0,1]
	v_pk_mul_f32 v[106:107], v[106:107], s[30:31]
	v_pk_add_f32 v[108:109], v[96:97], v[88:89]
	v_pk_add_f32 v[116:117], v[86:87], v[116:117] neg_lo:[0,1] neg_hi:[0,1]
	v_pk_add_f32 v[84:85], v[84:85], v[92:93]
	v_pk_mul_f32 v[94:95], v[94:95], s[28:29]
	v_pk_mul_f32 v[104:105], v[102:103], s[26:27]
	v_pk_add_f32 v[108:109], v[108:109], v[90:91]
	v_pk_mul_f32 v[114:115], v[116:117], s[22:23]
	v_pk_fma_f32 v[92:93], v[92:93], s[20:21], v[84:85] op_sel_hi:[1,0,1] neg_lo:[1,0,0] neg_hi:[1,0,0]
	v_pk_fma_f32 v[116:117], v[116:117], s[22:23], v[94:95]
	v_pk_fma_f32 v[102:103], v[102:103], s[26:27], v[106:107]
	v_pk_add_f32 v[116:117], v[116:117], v[92:93]
	v_pk_fma_f32 v[102:103], v[108:109], s[16:17], v[102:103] op_sel_hi:[1,0,1]
	v_mov_b32_e32 v97, v89
	v_pk_add_f32 v[118:119], v[116:117], v[102:103]
	v_pk_add_f32 v[102:103], v[116:117], v[102:103] neg_lo:[0,1] neg_hi:[0,1]
	v_mov_b32_e32 v116, v118
	v_mov_b32_e32 v117, v103
	;; [unrolled: 1-line block ×4, first 2 shown]
	ds_write2_b64 v246, v[84:85], v[116:117] offset1:54
	v_pk_add_f32 v[84:85], v[96:97], v[90:91] neg_lo:[0,1] neg_hi:[0,1]
	v_pk_add_f32 v[82:83], v[82:83], v[86:87] neg_lo:[0,1] neg_hi:[0,1]
	v_mov_b32_e32 v86, v114
	v_mov_b32_e32 v87, v95
	;; [unrolled: 1-line block ×6, first 2 shown]
	v_pk_fma_f32 v[86:87], v[82:83], s[18:19], v[86:87] op_sel_hi:[1,0,1] neg_lo:[1,0,1] neg_hi:[1,0,1]
	v_pk_fma_f32 v[88:89], v[84:85], s[24:25], v[88:89] op_sel_hi:[1,0,1] neg_lo:[1,0,1] neg_hi:[1,0,1]
	v_pk_fma_f32 v[82:83], v[82:83], s[18:19], v[94:95] op_sel_hi:[1,0,1] neg_lo:[0,0,1] neg_hi:[0,0,1]
	v_pk_fma_f32 v[84:85], v[84:85], s[24:25], v[106:107] op_sel_hi:[1,0,1] neg_lo:[0,0,1] neg_hi:[0,0,1]
	v_pk_add_f32 v[86:87], v[86:87], v[92:93]
	v_pk_fma_f32 v[88:89], v[108:109], s[16:17], v[88:89] op_sel_hi:[1,0,1]
	v_pk_add_f32 v[82:83], v[82:83], v[92:93]
	v_pk_fma_f32 v[84:85], v[108:109], s[16:17], v[84:85] op_sel_hi:[1,0,1]
	v_pk_add_f32 v[90:91], v[86:87], v[88:89]
	v_pk_add_f32 v[86:87], v[86:87], v[88:89] neg_lo:[0,1] neg_hi:[0,1]
	v_pk_add_f32 v[92:93], v[82:83], v[84:85] neg_lo:[0,1] neg_hi:[0,1]
	v_pk_add_f32 v[82:83], v[82:83], v[84:85]
	v_mov_b32_e32 v88, v90
	v_mov_b32_e32 v89, v87
	;; [unrolled: 1-line block ×4, first 2 shown]
	ds_write2_b64 v246, v[88:89], v[84:85] offset0:108 offset1:162
	v_mov_b32_e32 v83, v93
	v_mov_b32_e32 v87, v91
	v_add_u32_e32 v84, 0x400, v246
	ds_write2_b64 v84, v[82:83], v[86:87] offset0:88 offset1:142
	v_lshlrev_b32_e32 v82, 3, v196
	v_mov_b32_e32 v103, v119
	v_accvgpr_write_b32 a0, v82
	ds_write_b64 v246, v[102:103] offset:2592
	s_and_saveexec_b64 s[16:17], s[2:3]
	s_cbranch_execz .LBB0_11
; %bb.10:
	v_accvgpr_read_b32 v83, a0
	v_add_u32_e32 v82, 0x2c00, v83
	ds_write2_b64 v82, v[80:81], v[178:179] offset0:104 offset1:158
	v_mov_b32_e32 v80, v175
	v_mov_b32_e32 v81, v169
	v_add_u32_e32 v82, 0x3000, v83
	ds_write2_b64 v82, v[172:173], v[80:81] offset0:84 offset1:138
	ds_write2_b64 v82, v[176:177], v[170:171] offset0:192 offset1:246
	v_mov_b32_e32 v80, v168
	v_mov_b32_e32 v81, v174
	ds_write_b64 v83, v[80:81] offset:14688
.LBB0_11:
	s_or_b64 exec, exec, s[16:17]
	v_lshlrev_b32_e32 v80, 5, v112
	s_waitcnt lgkmcnt(0)
	s_barrier
	global_load_dwordx4 v[84:87], v80, s[0:1] offset:3008
	s_nop 0
	global_load_dwordx4 v[80:83], v80, s[0:1] offset:3024
	v_lshlrev_b32_e32 v88, 5, v148
	global_load_dwordx4 v[100:103], v88, s[0:1] offset:3008
	global_load_dwordx4 v[96:99], v88, s[0:1] offset:3024
	v_lshlrev_b32_e32 v88, 5, v110
	global_load_dwordx4 v[92:95], v88, s[0:1] offset:3008
	s_nop 0
	global_load_dwordx4 v[88:91], v88, s[0:1] offset:3024
	v_add_u32_e32 v108, 0x400, v132
	ds_read_b64 v[106:107], v132 offset:14112
	v_add_u32_e32 v109, 0xc00, v132
	v_add_u32_e32 v183, 0x1c00, v132
	;; [unrolled: 1-line block ×3, first 2 shown]
	ds_read2_b64 v[110:113], v132 offset1:126
	v_add_u32_e32 v130, 0x1400, v132
	v_add_u32_e32 v219, 0x2c00, v132
	ds_read2_b64 v[114:117], v108 offset0:124 offset1:250
	ds_read2_b64 v[118:121], v109 offset0:120 offset1:246
	ds_read2_b64 v[122:125], v183 offset0:112 offset1:238
	ds_read2_b64 v[126:129], v218 offset0:108 offset1:234
	ds_read2_b64 v[184:187], v130 offset0:116 offset1:242
	ds_read2_b64 v[188:191], v219 offset0:104 offset1:230
	s_mov_b32 s16, 0x3f737871
	s_mov_b32 s18, 0x3f167918
	s_mov_b32 s0, 0x3e9e377a
	v_lshlrev_b32_e32 v104, 3, v148
	v_mov_b32_e32 v105, 0
	v_lshl_add_u64 v[104:105], s[14:15], 0, v[104:105]
	s_waitcnt vmcnt(5) lgkmcnt(4)
	v_pk_mul_f32 v[130:131], v[120:121], v[84:85] op_sel:[0,1]
	v_mov_b32_e32 v180, v87
	s_waitcnt vmcnt(4) lgkmcnt(2)
	v_pk_mul_f32 v[192:193], v[128:129], v[80:81] op_sel:[0,1]
	v_mov_b32_e32 v194, v83
	s_waitcnt vmcnt(3)
	v_pk_mul_f32 v[196:197], v[116:117], v[100:101] op_sel:[0,1]
	v_mov_b32_e32 v198, v103
	s_waitcnt vmcnt(2)
	v_pk_mul_f32 v[200:201], v[124:125], v[96:97] op_sel:[0,1]
	v_mov_b32_e32 v202, v99
	s_waitcnt vmcnt(1)
	v_mov_b32_e32 v206, v95
	v_pk_fma_f32 v[208:209], v[120:121], v[84:85], v[130:131] op_sel:[0,0,1] op_sel_hi:[1,1,0] neg_lo:[0,0,1] neg_hi:[0,0,1]
	v_pk_fma_f32 v[120:121], v[120:121], v[84:85], v[130:131] op_sel:[0,0,1] op_sel_hi:[1,0,0]
	v_pk_mul_f32 v[130:131], v[122:123], v[180:181] op_sel_hi:[1,0]
	v_pk_fma_f32 v[210:211], v[128:129], v[80:81], v[192:193] op_sel:[0,0,1] op_sel_hi:[1,1,0] neg_lo:[0,0,1] neg_hi:[0,0,1]
	v_pk_fma_f32 v[128:129], v[128:129], v[80:81], v[192:193] op_sel:[0,0,1] op_sel_hi:[1,0,0]
	v_pk_mul_f32 v[180:181], v[106:107], v[194:195] op_sel_hi:[1,0]
	v_pk_fma_f32 v[192:193], v[116:117], v[100:101], v[196:197] op_sel:[0,0,1] op_sel_hi:[1,1,0] neg_lo:[0,0,1] neg_hi:[0,0,1]
	v_pk_fma_f32 v[116:117], v[116:117], v[100:101], v[196:197] op_sel:[0,0,1] op_sel_hi:[1,0,0]
	s_waitcnt lgkmcnt(1)
	v_pk_mul_f32 v[194:195], v[184:185], v[198:199] op_sel_hi:[1,0]
	v_pk_fma_f32 v[196:197], v[124:125], v[96:97], v[200:201] op_sel:[0,0,1] op_sel_hi:[1,1,0] neg_lo:[0,0,1] neg_hi:[0,0,1]
	v_pk_fma_f32 v[124:125], v[124:125], v[96:97], v[200:201] op_sel:[0,0,1] op_sel_hi:[1,0,0]
	s_waitcnt lgkmcnt(0)
	v_pk_mul_f32 v[198:199], v[188:189], v[202:203] op_sel_hi:[1,0]
	v_mov_b32_e32 v209, v121
	v_pk_fma_f32 v[120:121], v[122:123], v[86:87], v[130:131] op_sel:[0,0,1] op_sel_hi:[1,1,0] neg_lo:[0,0,1] neg_hi:[0,0,1]
	v_pk_fma_f32 v[122:123], v[122:123], v[86:87], v[130:131] op_sel:[0,0,1] op_sel_hi:[1,0,0]
	v_mov_b32_e32 v193, v117
	v_pk_fma_f32 v[116:117], v[184:185], v[102:103], v[194:195] op_sel:[0,0,1] op_sel_hi:[1,1,0] neg_lo:[0,0,1] neg_hi:[0,0,1]
	v_pk_fma_f32 v[130:131], v[184:185], v[102:103], v[194:195] op_sel:[0,0,1] op_sel_hi:[1,0,0]
	v_pk_mul_f32 v[194:195], v[186:187], v[206:207] op_sel_hi:[1,0]
	v_mov_b32_e32 v211, v129
	v_pk_fma_f32 v[128:129], v[106:107], v[82:83], v[180:181] op_sel:[0,0,1] op_sel_hi:[1,1,0] neg_lo:[0,0,1] neg_hi:[0,0,1]
	v_pk_fma_f32 v[106:107], v[106:107], v[82:83], v[180:181] op_sel:[0,0,1] op_sel_hi:[1,0,0]
	v_mov_b32_e32 v197, v125
	v_pk_fma_f32 v[124:125], v[188:189], v[98:99], v[198:199] op_sel:[0,0,1] op_sel_hi:[1,1,0] neg_lo:[0,0,1] neg_hi:[0,0,1]
	v_pk_fma_f32 v[180:181], v[188:189], v[98:99], v[198:199] op_sel:[0,0,1] op_sel_hi:[1,0,0]
	v_pk_fma_f32 v[198:199], v[186:187], v[94:95], v[194:195] op_sel:[0,0,1] op_sel_hi:[1,1,0] neg_lo:[0,0,1] neg_hi:[0,0,1]
	v_pk_fma_f32 v[186:187], v[186:187], v[94:95], v[194:195] op_sel:[0,0,1] op_sel_hi:[1,0,0]
	v_mov_b32_e32 v117, v131
	v_mov_b32_e32 v199, v187
	s_waitcnt vmcnt(0)
	v_pk_mul_f32 v[186:187], v[126:127], v[88:89] op_sel:[0,1]
	v_mov_b32_e32 v125, v181
	v_pk_fma_f32 v[194:195], v[126:127], v[88:89], v[186:187] op_sel:[0,0,1] op_sel_hi:[1,1,0] neg_lo:[0,0,1] neg_hi:[0,0,1]
	v_pk_fma_f32 v[126:127], v[126:127], v[88:89], v[186:187] op_sel:[0,0,1] op_sel_hi:[1,0,0]
	v_pk_mul_f32 v[204:205], v[118:119], v[92:93] op_sel:[0,1]
	v_mov_b32_e32 v126, v91
	v_mov_b32_e32 v195, v127
	v_pk_mul_f32 v[126:127], v[190:191], v[126:127] op_sel_hi:[1,0]
	v_pk_add_f32 v[202:203], v[192:193], v[124:125] neg_lo:[0,1] neg_hi:[0,1]
	v_pk_fma_f32 v[186:187], v[190:191], v[90:91], v[126:127] op_sel:[0,0,1] op_sel_hi:[1,1,0] neg_lo:[0,0,1] neg_hi:[0,0,1]
	v_pk_fma_f32 v[126:127], v[190:191], v[90:91], v[126:127] op_sel:[0,0,1] op_sel_hi:[1,0,0]
	v_pk_add_f32 v[190:191], v[116:117], v[196:197]
	v_pk_fma_f32 v[200:201], v[118:119], v[92:93], v[204:205] op_sel:[0,0,1] op_sel_hi:[1,1,0] neg_lo:[0,0,1] neg_hi:[0,0,1]
	v_pk_fma_f32 v[118:119], v[118:119], v[92:93], v[204:205] op_sel:[0,0,1] op_sel_hi:[1,0,0]
	v_pk_fma_f32 v[190:191], v[190:191], 0.5, v[110:111] op_sel_hi:[1,0,1] neg_lo:[1,0,0] neg_hi:[1,0,0]
	v_pk_mul_f32 v[204:205], v[202:203], s[16:17] op_sel_hi:[1,0]
	v_pk_add_f32 v[206:207], v[116:117], v[196:197] neg_lo:[0,1] neg_hi:[0,1]
	v_pk_add_f32 v[214:215], v[192:193], v[116:117] neg_lo:[0,1] neg_hi:[0,1]
	;; [unrolled: 1-line block ×3, first 2 shown]
	v_pk_mul_f32 v[212:213], v[206:207], s[18:19] op_sel_hi:[1,0]
	v_pk_add_f32 v[214:215], v[214:215], v[216:217]
	v_pk_add_f32 v[216:217], v[190:191], v[204:205] op_sel:[0,1] op_sel_hi:[1,0]
	v_pk_add_f32 v[190:191], v[190:191], v[204:205] op_sel:[0,1] op_sel_hi:[1,0] neg_lo:[0,1] neg_hi:[0,1]
	v_mov_b32_e32 v129, v107
	v_pk_add_f32 v[106:107], v[110:111], v[192:193]
	v_pk_add_f32 v[190:191], v[190:191], v[212:213] op_sel:[0,1] op_sel_hi:[1,0] neg_lo:[0,1] neg_hi:[0,1]
	v_pk_add_f32 v[204:205], v[216:217], v[212:213] op_sel:[0,1] op_sel_hi:[1,0]
	v_pk_add_f32 v[106:107], v[106:107], v[116:117]
	v_mov_b32_e32 v213, v191
	v_mov_b32_e32 v191, v205
	v_pk_add_f32 v[106:107], v[106:107], v[196:197]
	v_mov_b32_e32 v212, v204
	v_pk_fma_f32 v[190:191], v[214:215], s[0:1], v[190:191] op_sel_hi:[1,0,1]
	v_pk_add_f32 v[106:107], v[106:107], v[124:125]
	v_pk_fma_f32 v[212:213], v[214:215], s[0:1], v[212:213] op_sel_hi:[1,0,1]
	ds_write_b64 v132, v[190:191] offset:12096
	ds_write_b64 v132, v[212:213] offset:3024
	v_pk_add_f32 v[190:191], v[192:193], v[124:125]
	v_pk_add_f32 v[116:117], v[116:117], v[192:193] neg_lo:[0,1] neg_hi:[0,1]
	v_pk_add_f32 v[124:125], v[196:197], v[124:125] neg_lo:[0,1] neg_hi:[0,1]
	v_pk_fma_f32 v[110:111], v[190:191], 0.5, v[110:111] op_sel_hi:[1,0,1] neg_lo:[1,0,0] neg_hi:[1,0,0]
	v_pk_add_f32 v[116:117], v[116:117], v[124:125]
	v_pk_mul_f32 v[124:125], v[206:207], s[16:17] op_sel_hi:[1,0]
	v_mov_b32_e32 v201, v119
	v_pk_mul_f32 v[190:191], v[202:203], s[18:19] op_sel_hi:[1,0]
	v_pk_add_f32 v[192:193], v[110:111], v[124:125] op_sel:[0,1] op_sel_hi:[1,0] neg_lo:[0,1] neg_hi:[0,1]
	v_pk_add_f32 v[110:111], v[110:111], v[124:125] op_sel:[0,1] op_sel_hi:[1,0]
	v_mov_b32_e32 v187, v127
	v_pk_add_f32 v[126:127], v[112:113], v[200:201]
	v_pk_add_f32 v[110:111], v[110:111], v[190:191] op_sel:[0,1] op_sel_hi:[1,0] neg_lo:[0,1] neg_hi:[0,1]
	v_pk_add_f32 v[124:125], v[192:193], v[190:191] op_sel:[0,1] op_sel_hi:[1,0]
	v_pk_add_f32 v[126:127], v[126:127], v[198:199]
	v_mov_b32_e32 v191, v111
	v_mov_b32_e32 v111, v125
	v_pk_add_f32 v[126:127], v[126:127], v[194:195]
	v_mov_b32_e32 v190, v124
	v_pk_fma_f32 v[110:111], v[116:117], s[0:1], v[110:111] op_sel_hi:[1,0,1]
	v_pk_add_f32 v[126:127], v[126:127], v[186:187]
	v_pk_fma_f32 v[190:191], v[116:117], s[0:1], v[190:191] op_sel_hi:[1,0,1]
	ds_write_b64 v132, v[110:111] offset:9072
	ds_write_b64 v132, v[190:191] offset:6048
	ds_write2_b64 v132, v[106:107], v[126:127] offset1:126
	v_pk_add_f32 v[106:107], v[198:199], v[194:195]
	v_pk_add_f32 v[110:111], v[200:201], v[186:187] neg_lo:[0,1] neg_hi:[0,1]
	v_pk_fma_f32 v[106:107], v[106:107], 0.5, v[112:113] op_sel_hi:[1,0,1] neg_lo:[1,0,0] neg_hi:[1,0,0]
	v_pk_mul_f32 v[116:117], v[110:111], s[16:17] op_sel_hi:[1,0]
	v_pk_add_f32 v[124:125], v[198:199], v[194:195] neg_lo:[0,1] neg_hi:[0,1]
	v_pk_add_f32 v[190:191], v[200:201], v[198:199] neg_lo:[0,1] neg_hi:[0,1]
	;; [unrolled: 1-line block ×3, first 2 shown]
	v_pk_mul_f32 v[126:127], v[124:125], s[18:19] op_sel_hi:[1,0]
	v_pk_add_f32 v[190:191], v[190:191], v[192:193]
	v_pk_add_f32 v[192:193], v[106:107], v[116:117] op_sel:[0,1] op_sel_hi:[1,0]
	v_pk_add_f32 v[106:107], v[106:107], v[116:117] op_sel:[0,1] op_sel_hi:[1,0] neg_lo:[0,1] neg_hi:[0,1]
	v_pk_add_f32 v[116:117], v[192:193], v[126:127] op_sel:[0,1] op_sel_hi:[1,0]
	v_pk_add_f32 v[106:107], v[106:107], v[126:127] op_sel:[0,1] op_sel_hi:[1,0] neg_lo:[0,1] neg_hi:[0,1]
	v_mov_b32_e32 v121, v123
	v_mov_b32_e32 v127, v107
	;; [unrolled: 1-line block ×3, first 2 shown]
	v_pk_add_f32 v[118:119], v[120:121], v[210:211]
	v_pk_add_f32 v[192:193], v[200:201], v[186:187]
	v_pk_fma_f32 v[106:107], v[190:191], s[0:1], v[106:107] op_sel_hi:[1,0,1]
	v_pk_add_f32 v[122:123], v[208:209], v[128:129] neg_lo:[0,1] neg_hi:[0,1]
	v_pk_add_f32 v[180:181], v[208:209], v[120:121] neg_lo:[0,1] neg_hi:[0,1]
	;; [unrolled: 1-line block ×3, first 2 shown]
	v_pk_fma_f32 v[118:119], v[118:119], 0.5, v[114:115] op_sel_hi:[1,0,1] neg_lo:[1,0,0] neg_hi:[1,0,0]
	v_pk_fma_f32 v[112:113], v[192:193], 0.5, v[112:113] op_sel_hi:[1,0,1] neg_lo:[1,0,0] neg_hi:[1,0,0]
	v_pk_add_f32 v[192:193], v[198:199], v[200:201] neg_lo:[0,1] neg_hi:[0,1]
	v_pk_add_f32 v[186:187], v[194:195], v[186:187] neg_lo:[0,1] neg_hi:[0,1]
	v_pk_mul_f32 v[124:125], v[124:125], s[16:17] op_sel_hi:[1,0]
	ds_write_b64 v132, v[106:107] offset:13104
	v_pk_add_f32 v[106:107], v[114:115], v[208:209]
	v_pk_add_f32 v[130:131], v[120:121], v[210:211] neg_lo:[0,1] neg_hi:[0,1]
	v_pk_add_f32 v[184:185], v[180:181], v[184:185]
	v_pk_fma_f32 v[180:181], v[122:123], s[16:17], v[118:119] op_sel:[1,0,0] op_sel_hi:[0,0,1] neg_lo:[1,0,0] neg_hi:[1,0,0]
	v_pk_fma_f32 v[118:119], v[122:123], s[16:17], v[118:119] op_sel:[1,0,0] op_sel_hi:[0,0,1]
	v_pk_add_f32 v[186:187], v[192:193], v[186:187]
	v_pk_mul_f32 v[110:111], v[110:111], s[18:19] op_sel_hi:[1,0]
	v_pk_add_f32 v[192:193], v[112:113], v[124:125] op_sel:[0,1] op_sel_hi:[1,0] neg_lo:[0,1] neg_hi:[0,1]
	v_pk_add_f32 v[112:113], v[112:113], v[124:125] op_sel:[0,1] op_sel_hi:[1,0]
	v_pk_add_f32 v[106:107], v[106:107], v[120:121]
	v_pk_fma_f32 v[118:119], v[130:131], s[18:19], v[118:119] op_sel:[1,0,0] op_sel_hi:[0,0,1]
	v_pk_fma_f32 v[188:189], v[130:131], s[18:19], v[180:181] op_sel:[1,0,0] op_sel_hi:[0,0,1] neg_lo:[1,0,0] neg_hi:[1,0,0]
	v_pk_add_f32 v[112:113], v[112:113], v[110:111] op_sel:[0,1] op_sel_hi:[1,0] neg_lo:[0,1] neg_hi:[0,1]
	v_pk_add_f32 v[110:111], v[192:193], v[110:111] op_sel:[0,1] op_sel_hi:[1,0]
	v_pk_add_f32 v[106:107], v[106:107], v[210:211]
	v_mov_b32_e32 v181, v119
	v_mov_b32_e32 v126, v116
	;; [unrolled: 1-line block ×5, first 2 shown]
	v_pk_add_f32 v[106:107], v[106:107], v[128:129]
	v_mov_b32_e32 v119, v189
	v_pk_fma_f32 v[126:127], v[190:191], s[0:1], v[126:127] op_sel_hi:[1,0,1]
	v_pk_fma_f32 v[124:125], v[186:187], s[0:1], v[124:125] op_sel_hi:[1,0,1]
	;; [unrolled: 1-line block ×3, first 2 shown]
	ds_write_b64 v132, v[106:107] offset:2016
	v_pk_fma_f32 v[106:107], v[184:185], s[0:1], v[118:119] op_sel_hi:[1,0,1]
	ds_write_b64 v132, v[124:125] offset:7056
	ds_write_b64 v132, v[110:111] offset:10080
	ds_write2_b64 v109, v[126:127], v[106:107] offset0:120 offset1:246
	v_pk_add_f32 v[106:107], v[208:209], v[128:129]
	v_pk_add_f32 v[110:111], v[120:121], v[208:209] neg_lo:[0,1] neg_hi:[0,1]
	v_pk_fma_f32 v[106:107], v[106:107], 0.5, v[114:115] op_sel_hi:[1,0,1] neg_lo:[1,0,0] neg_hi:[1,0,0]
	v_pk_add_f32 v[112:113], v[210:211], v[128:129] neg_lo:[0,1] neg_hi:[0,1]
	v_mov_b32_e32 v180, v188
	v_pk_add_f32 v[110:111], v[110:111], v[112:113]
	v_pk_fma_f32 v[112:113], v[130:131], s[16:17], v[106:107] op_sel:[1,0,0] op_sel_hi:[0,0,1] neg_lo:[1,0,0] neg_hi:[1,0,0]
	v_pk_fma_f32 v[106:107], v[130:131], s[16:17], v[106:107] op_sel:[1,0,0] op_sel_hi:[0,0,1]
	v_pk_fma_f32 v[106:107], v[122:123], s[18:19], v[106:107] op_sel:[1,0,0] op_sel_hi:[0,0,1] neg_lo:[1,0,0] neg_hi:[1,0,0]
	v_pk_fma_f32 v[112:113], v[122:123], s[18:19], v[112:113] op_sel:[1,0,0] op_sel_hi:[0,0,1]
	v_mov_b32_e32 v114, v112
	v_mov_b32_e32 v115, v107
	;; [unrolled: 1-line block ×3, first 2 shown]
	v_pk_fma_f32 v[180:181], v[184:185], s[0:1], v[180:181] op_sel_hi:[1,0,1]
	v_pk_fma_f32 v[114:115], v[110:111], s[0:1], v[114:115] op_sel_hi:[1,0,1]
	;; [unrolled: 1-line block ×3, first 2 shown]
	s_movk_i32 s0, 0x3000
	ds_write_b64 v132, v[114:115] offset:8064
	ds_write_b64 v132, v[106:107] offset:11088
	;; [unrolled: 1-line block ×3, first 2 shown]
	v_add_co_u32_e32 v106, vcc, s0, v104
	s_waitcnt lgkmcnt(0)
	s_nop 0
	v_addc_co_u32_e32 v107, vcc, 0, v105, vcc
	s_barrier
	global_load_dwordx2 v[114:115], v[106:107], off offset:2832
	s_movk_i32 s0, 0x5000
	v_add_co_u32_e32 v116, vcc, s0, v104
	s_mov_b64 s[0:1], 0x3b10
	s_nop 0
	v_addc_co_u32_e32 v117, vcc, 0, v105, vcc
	global_load_dwordx2 v[118:119], v[116:117], off offset:2200
	v_lshl_add_u64 v[106:107], v[104:105], 0, s[0:1]
	global_load_dwordx2 v[120:121], v[106:107], off offset:1008
	global_load_dwordx2 v[124:125], v[116:117], off offset:3208
	;; [unrolled: 1-line block ×3, first 2 shown]
	s_movk_i32 s0, 0x6000
	v_add_co_u32_e32 v110, vcc, s0, v104
	s_movk_i32 s0, 0x4000
	s_nop 0
	v_addc_co_u32_e32 v111, vcc, 0, v105, vcc
	global_load_dwordx2 v[128:129], v[110:111], off offset:120
	global_load_dwordx2 v[130:131], v[106:107], off offset:3024
	;; [unrolled: 1-line block ×5, first 2 shown]
	v_add_co_u32_e32 v112, vcc, s0, v104
	s_nop 1
	v_addc_co_u32_e32 v113, vcc, 0, v105, vcc
	global_load_dwordx2 v[190:191], v[112:113], off offset:3776
	global_load_dwordx2 v[192:193], v[110:111], off offset:3144
	;; [unrolled: 1-line block ×3, first 2 shown]
	v_add_co_u32_e32 v104, vcc, 0x7000, v104
	ds_read2_b64 v[110:113], v132 offset1:126
	s_nop 0
	v_addc_co_u32_e32 v105, vcc, 0, v105, vcc
	global_load_dwordx2 v[196:197], v[104:105], off offset:56
	s_waitcnt vmcnt(13) lgkmcnt(0)
	v_mul_f32_e32 v104, v111, v115
	v_mul_f32_e32 v105, v110, v115
	v_fma_f32 v104, v110, v114, -v104
	v_fmac_f32_e32 v105, v111, v114
	ds_write_b64 v132, v[104:105]
	v_add_u32_e32 v104, 0x1600, v132
	ds_read2_b64 v[114:117], v104 offset0:52 offset1:241
	v_add_u32_e32 v110, 0x2000, v132
	s_waitcnt vmcnt(11)
	v_mul_f32_e32 v201, v112, v121
	v_fmac_f32_e32 v201, v113, v120
	v_add_u32_e32 v111, 0x2800, v132
	s_waitcnt lgkmcnt(0)
	v_mul_f32_e32 v105, v117, v119
	v_mul_f32_e32 v199, v116, v119
	v_fma_f32 v198, v116, v118, -v105
	v_fmac_f32_e32 v199, v117, v118
	ds_read2_b64 v[116:119], v110 offset0:47 offset1:173
	v_mul_f32_e32 v105, v113, v121
	v_fma_f32 v200, v112, v120, -v105
	ds_read2_b64 v[120:123], v108 offset0:124 offset1:250
	s_waitcnt vmcnt(10) lgkmcnt(1)
	v_mul_f32_e32 v105, v117, v125
	v_mul_f32_e32 v113, v116, v125
	v_fma_f32 v112, v116, v124, -v105
	v_fmac_f32_e32 v113, v117, v124
	ds_write2_b64 v183, v[198:199], v[112:113] offset0:49 offset1:175
	s_waitcnt vmcnt(9) lgkmcnt(1)
	v_mul_f32_e32 v105, v121, v127
	v_mul_f32_e32 v113, v120, v127
	v_fma_f32 v112, v120, v126, -v105
	v_fmac_f32_e32 v113, v121, v126
	ds_write2_b64 v132, v[200:201], v[112:113] offset0:126 offset1:252
	s_waitcnt vmcnt(8)
	v_mul_f32_e32 v105, v119, v129
	v_mul_f32_e32 v113, v118, v129
	v_fma_f32 v112, v118, v128, -v105
	v_fmac_f32_e32 v113, v119, v128
	ds_read2_b64 v[116:119], v111 offset0:43 offset1:169
	s_waitcnt vmcnt(7)
	v_mul_f32_e32 v105, v123, v131
	v_mul_f32_e32 v125, v122, v131
	v_fma_f32 v124, v122, v130, -v105
	v_fmac_f32_e32 v125, v123, v130
	ds_read2_b64 v[120:123], v109 offset0:120 offset1:246
	s_waitcnt vmcnt(6) lgkmcnt(1)
	v_mul_f32_e32 v105, v117, v185
	v_mul_f32_e32 v127, v116, v185
	v_fma_f32 v126, v116, v184, -v105
	v_fmac_f32_e32 v127, v117, v184
	ds_write2_b64 v218, v[112:113], v[126:127] offset0:45 offset1:171
	s_waitcnt vmcnt(5) lgkmcnt(1)
	v_mul_f32_e32 v105, v121, v187
	v_mul_f32_e32 v113, v120, v187
	v_fma_f32 v112, v120, v186, -v105
	v_fmac_f32_e32 v113, v121, v186
	v_add_u32_e32 v105, 0x800, v132
	ds_write2_b64 v105, v[124:125], v[112:113] offset0:122 offset1:248
	s_waitcnt vmcnt(4)
	v_mul_f32_e32 v105, v119, v189
	v_mul_f32_e32 v113, v118, v189
	v_add_u32_e32 v120, 0x3000, v132
	v_fma_f32 v112, v118, v188, -v105
	v_fmac_f32_e32 v113, v119, v188
	ds_read2_b64 v[116:119], v120 offset0:39 offset1:165
	s_waitcnt vmcnt(3)
	v_mul_f32_e32 v105, v123, v191
	v_mul_f32_e32 v125, v122, v191
	v_fma_f32 v124, v122, v190, -v105
	v_fmac_f32_e32 v125, v123, v190
	s_waitcnt vmcnt(2) lgkmcnt(0)
	v_mul_f32_e32 v105, v117, v193
	v_mul_f32_e32 v123, v116, v193
	v_fma_f32 v122, v116, v192, -v105
	v_fmac_f32_e32 v123, v117, v192
	ds_write2_b64 v219, v[112:113], v[122:123] offset0:41 offset1:167
	s_waitcnt vmcnt(1)
	v_mul_f32_e32 v105, v115, v195
	v_mul_f32_e32 v113, v114, v195
	v_fma_f32 v112, v114, v194, -v105
	v_fmac_f32_e32 v113, v115, v194
	v_add_u32_e32 v105, 0x1000, v132
	ds_write2_b64 v105, v[124:125], v[112:113] offset0:118 offset1:244
	s_waitcnt vmcnt(0)
	v_mul_f32_e32 v105, v119, v197
	v_mul_f32_e32 v113, v118, v197
	v_fma_f32 v112, v118, v196, -v105
	v_fmac_f32_e32 v113, v119, v196
	ds_write_b64 v132, v[112:113] offset:13608
	s_and_saveexec_b64 s[0:1], s[6:7]
	s_cbranch_execz .LBB0_13
; %bb.12:
	v_add_co_u32_e32 v112, vcc, 0x1000, v106
	s_nop 1
	v_addc_co_u32_e32 v113, vcc, 0, v107, vcc
	v_add_co_u32_e32 v106, vcc, 0x3000, v106
	global_load_dwordx2 v[112:113], v[112:113], off offset:2960
	s_nop 0
	v_addc_co_u32_e32 v107, vcc, 0, v107, vcc
	global_load_dwordx2 v[106:107], v[106:107], off offset:2328
	ds_read_b64 v[114:115], v132 offset:7056
	ds_read_b64 v[116:117], v132 offset:14616
	s_waitcnt vmcnt(1) lgkmcnt(1)
	v_mul_f32_e32 v105, v115, v113
	v_mul_f32_e32 v119, v114, v113
	v_fma_f32 v118, v114, v112, -v105
	s_waitcnt vmcnt(0) lgkmcnt(0)
	v_mul_f32_e32 v105, v117, v107
	v_mul_f32_e32 v113, v116, v107
	v_fmac_f32_e32 v119, v115, v112
	v_fma_f32 v112, v116, v106, -v105
	v_fmac_f32_e32 v113, v117, v106
	ds_write_b64 v132, v[118:119] offset:7056
	ds_write_b64 v132, v[112:113] offset:14616
.LBB0_13:
	s_or_b64 exec, exec, s[0:1]
	s_waitcnt lgkmcnt(0)
	s_barrier
	ds_read2_b64 v[116:119], v132 offset1:126
	ds_read2_b64 v[104:107], v104 offset0:52 offset1:241
	ds_read2_b64 v[128:131], v110 offset0:47 offset1:173
	ds_read2_b64 v[112:115], v108 offset0:124 offset1:250
	ds_read2_b64 v[124:127], v111 offset0:43 offset1:169
	ds_read2_b64 v[108:111], v109 offset0:120 offset1:246
	ds_read2_b64 v[120:123], v120 offset0:39 offset1:165
	v_add_u32_e32 v248, 0x2760, v182
	v_add_u32_e32 v247, 0x2f40, v182
	s_and_saveexec_b64 s[0:1], s[6:7]
	s_cbranch_execz .LBB0_15
; %bb.14:
	ds_read_b64 v[180:181], v132 offset:7056
	ds_read_b64 v[178:179], v132 offset:14616
.LBB0_15:
	s_or_b64 exec, exec, s[0:1]
	s_waitcnt lgkmcnt(5)
	v_pk_add_f32 v[252:253], v[116:117], v[106:107] neg_lo:[0,1] neg_hi:[0,1]
	s_waitcnt lgkmcnt(4)
	v_pk_add_f32 v[128:129], v[118:119], v[128:129] neg_lo:[0,1] neg_hi:[0,1]
	;; [unrolled: 2-line block ×4, first 2 shown]
	v_pk_fma_f32 v[250:251], v[116:117], 2.0, v[252:253] op_sel_hi:[1,0,1] neg_lo:[0,0,1] neg_hi:[0,0,1]
	v_pk_fma_f32 v[126:127], v[118:119], 2.0, v[128:129] op_sel_hi:[1,0,1] neg_lo:[0,0,1] neg_hi:[0,0,1]
	v_pk_add_f32 v[124:125], v[114:115], v[124:125] neg_lo:[0,1] neg_hi:[0,1]
	s_waitcnt lgkmcnt(0)
	v_pk_add_f32 v[120:121], v[110:111], v[120:121] neg_lo:[0,1] neg_hi:[0,1]
	v_pk_add_f32 v[232:233], v[104:105], v[122:123] neg_lo:[0,1] neg_hi:[0,1]
	s_barrier
	ds_write_b128 v228, v[250:253]
	ds_write_b128 v230, v[126:129]
	v_pk_fma_f32 v[128:129], v[112:113], 2.0, v[130:131] op_sel_hi:[1,0,1] neg_lo:[0,0,1] neg_hi:[0,0,1]
	v_mov_b32_e32 v224, v0
	v_mov_b32_e32 v225, v0
	;; [unrolled: 1-line block ×66, first 2 shown]
	v_pk_add_f32 v[106:107], v[180:181], v[178:179] neg_lo:[0,1] neg_hi:[0,1]
	ds_write_b128 v231, v[128:131]
	v_pk_fma_f32 v[122:123], v[114:115], 2.0, v[124:125] op_sel_hi:[1,0,1] neg_lo:[0,0,1] neg_hi:[0,0,1]
	v_pk_fma_f32 v[252:253], v[108:109], 2.0, v[254:255] op_sel_hi:[1,0,1] neg_lo:[0,0,1] neg_hi:[0,0,1]
	;; [unrolled: 1-line block ×4, first 2 shown]
	ds_write_b128 v249, v[122:125]
	ds_write_b128 v227, v[252:255]
	;; [unrolled: 1-line block ×4, first 2 shown]
	s_and_saveexec_b64 s[0:1], s[6:7]
	s_cbranch_execz .LBB0_17
; %bb.16:
	v_pk_fma_f32 v[104:105], v[180:181], 2.0, v[106:107] op_sel_hi:[1,0,1] neg_lo:[0,0,1] neg_hi:[0,0,1]
	ds_write_b128 v244, v[104:107]
.LBB0_17:
	s_or_b64 exec, exec, s[0:1]
	v_add_u32_e32 v227, 0x1c00, v132
	s_waitcnt lgkmcnt(0)
	s_barrier
	ds_read2_b64 v[108:111], v227 offset0:112 offset1:238
	v_add_u32_e32 v228, 0xc00, v132
	ds_read2_b64 v[112:115], v228 offset0:120 offset1:246
	ds_read_b64 v[104:105], v132 offset:14112
	v_add_u32_e32 v254, 0x2c00, v132
	ds_read2_b64 v[120:123], v254 offset0:104 offset1:230
	s_waitcnt lgkmcnt(3)
	v_pk_mul_f32 v[116:117], v[0:1], v[110:111]
	v_add_u32_e32 v247, 0x400, v132
	v_pk_fma_f32 v[128:129], v[224:225], v[110:111], v[116:117] op_sel:[0,0,1] op_sel_hi:[1,1,0]
	v_pk_fma_f32 v[110:111], v[224:225], v[110:111], v[116:117] op_sel:[0,0,1] op_sel_hi:[1,1,0] neg_lo:[0,0,1] neg_hi:[0,0,1]
	ds_read2_b64 v[116:119], v247 offset0:124 offset1:250
	v_mov_b32_e32 v129, v111
	s_waitcnt lgkmcnt(2)
	v_pk_mul_f32 v[110:111], v[2:3], v[104:105]
	v_add_u32_e32 v255, 0x1400, v132
	v_pk_fma_f32 v[130:131], v[222:223], v[104:105], v[110:111] op_sel:[0,0,1] op_sel_hi:[1,1,0]
	v_pk_fma_f32 v[104:105], v[222:223], v[104:105], v[110:111] op_sel:[0,0,1] op_sel_hi:[1,1,0] neg_lo:[0,0,1] neg_hi:[0,0,1]
	v_pk_mul_f32 v[110:111], v[0:1], v[108:109]
	s_waitcnt lgkmcnt(1)
	v_pk_mul_f32 v[124:125], v[2:3], v[122:123]
	v_pk_fma_f32 v[178:179], v[224:225], v[108:109], v[110:111] op_sel:[0,0,1] op_sel_hi:[1,1,0]
	v_pk_fma_f32 v[108:109], v[224:225], v[108:109], v[110:111] op_sel:[0,0,1] op_sel_hi:[1,1,0] neg_lo:[0,0,1] neg_hi:[0,0,1]
	v_pk_fma_f32 v[180:181], v[222:223], v[122:123], v[124:125] op_sel:[0,0,1] op_sel_hi:[1,1,0]
	v_mov_b32_e32 v179, v109
	ds_read2_b64 v[108:111], v255 offset0:116 offset1:242
	v_pk_fma_f32 v[122:123], v[222:223], v[122:123], v[124:125] op_sel:[0,0,1] op_sel_hi:[1,1,0] neg_lo:[0,0,1] neg_hi:[0,0,1]
	v_add_u32_e32 v244, 0x2400, v132
	v_mov_b32_e32 v181, v123
	s_waitcnt lgkmcnt(1)
	v_pk_add_f32 v[122:123], v[118:119], v[178:179]
	ds_read2_b64 v[124:127], v244 offset0:108 offset1:234
	v_pk_add_f32 v[230:231], v[122:123], v[180:181]
	s_waitcnt lgkmcnt(1)
	v_pk_mul_f32 v[122:123], v[0:1], v[110:111]
	v_pk_mul_f32 v[250:251], v[0:1], v[108:109]
	v_pk_fma_f32 v[232:233], v[224:225], v[110:111], v[122:123] op_sel:[0,0,1] op_sel_hi:[1,1,0]
	v_pk_fma_f32 v[110:111], v[224:225], v[110:111], v[122:123] op_sel:[0,0,1] op_sel_hi:[1,1,0] neg_lo:[0,0,1] neg_hi:[0,0,1]
	v_pk_fma_f32 v[252:253], v[224:225], v[108:109], v[250:251] op_sel:[0,0,1] op_sel_hi:[1,1,0]
	v_mov_b32_e32 v233, v111
	v_pk_mul_f32 v[110:111], v[2:3], v[120:121]
	v_pk_fma_f32 v[108:109], v[224:225], v[108:109], v[250:251] op_sel:[0,0,1] op_sel_hi:[1,1,0] neg_lo:[0,0,1] neg_hi:[0,0,1]
	v_pk_fma_f32 v[248:249], v[222:223], v[120:121], v[110:111] op_sel:[0,0,1] op_sel_hi:[1,1,0]
	v_pk_fma_f32 v[110:111], v[222:223], v[120:121], v[110:111] op_sel:[0,0,1] op_sel_hi:[1,1,0] neg_lo:[0,0,1] neg_hi:[0,0,1]
	ds_read2_b64 v[120:123], v132 offset1:126
	v_mov_b32_e32 v253, v109
	s_waitcnt lgkmcnt(1)
	v_pk_mul_f32 v[108:109], v[2:3], v[126:127]
	v_pk_mul_f32 v[0:1], v[0:1], v[114:115]
	v_pk_fma_f32 v[250:251], v[222:223], v[126:127], v[108:109] op_sel:[0,0,1] op_sel_hi:[1,1,0]
	v_pk_fma_f32 v[108:109], v[222:223], v[126:127], v[108:109] op_sel:[0,0,1] op_sel_hi:[1,1,0] neg_lo:[0,0,1] neg_hi:[0,0,1]
	v_pk_fma_f32 v[126:127], v[224:225], v[114:115], v[0:1] op_sel:[0,0,1] op_sel_hi:[1,1,0]
	v_pk_fma_f32 v[0:1], v[224:225], v[114:115], v[0:1] op_sel:[0,0,1] op_sel_hi:[1,1,0] neg_lo:[0,0,1] neg_hi:[0,0,1]
	s_mov_b32 s0, 0x3f5db3d7
	v_mov_b32_e32 v127, v1
	v_pk_mul_f32 v[0:1], v[2:3], v[124:125]
	v_mov_b32_e32 v251, v109
	v_pk_fma_f32 v[2:3], v[222:223], v[124:125], v[0:1] op_sel:[0,0,1] op_sel_hi:[1,1,0]
	v_pk_fma_f32 v[0:1], v[222:223], v[124:125], v[0:1] op_sel:[0,0,1] op_sel_hi:[1,1,0] neg_lo:[0,0,1] neg_hi:[0,0,1]
	s_waitcnt lgkmcnt(0)
	v_mov_b32_e32 v3, v1
	v_pk_add_f32 v[0:1], v[120:121], v[126:127]
	v_pk_add_f32 v[114:115], v[126:127], v[2:3]
	;; [unrolled: 1-line block ×3, first 2 shown]
	v_pk_add_f32 v[2:3], v[126:127], v[2:3] neg_lo:[0,1] neg_hi:[0,1]
	v_pk_fma_f32 v[114:115], v[114:115], 0.5, v[120:121] op_sel_hi:[1,0,1] neg_lo:[1,0,0] neg_hi:[1,0,0]
	v_pk_mul_f32 v[2:3], v[2:3], s[0:1] op_sel_hi:[1,0]
	s_barrier
	v_pk_add_f32 v[120:121], v[114:115], v[2:3] op_sel:[0,1] op_sel_hi:[1,0] neg_lo:[0,1] neg_hi:[0,1]
	v_pk_add_f32 v[2:3], v[114:115], v[2:3] op_sel:[0,1] op_sel_hi:[1,0]
	v_mov_b32_e32 v114, v120
	v_mov_b32_e32 v115, v3
	;; [unrolled: 1-line block ×3, first 2 shown]
	ds_write2_b64 v229, v[0:1], v[114:115] offset1:2
	ds_write_b64 v229, v[2:3] offset:32
	v_pk_add_f32 v[0:1], v[252:253], v[250:251]
	v_pk_add_f32 v[2:3], v[252:253], v[250:251] neg_lo:[0,1] neg_hi:[0,1]
	v_pk_fma_f32 v[0:1], v[0:1], 0.5, v[122:123] op_sel_hi:[1,0,1] neg_lo:[1,0,0] neg_hi:[1,0,0]
	v_pk_mul_f32 v[2:3], v[2:3], s[0:1] op_sel_hi:[1,0]
	v_pk_add_f32 v[108:109], v[122:123], v[252:253]
	v_pk_add_f32 v[114:115], v[0:1], v[2:3] op_sel:[0,1] op_sel_hi:[1,0] neg_lo:[0,1] neg_hi:[0,1]
	v_pk_add_f32 v[0:1], v[0:1], v[2:3] op_sel:[0,1] op_sel_hi:[1,0]
	v_mov_b32_e32 v249, v111
	v_pk_add_f32 v[108:109], v[108:109], v[250:251]
	v_mov_b32_e32 v2, v114
	v_mov_b32_e32 v3, v1
	;; [unrolled: 1-line block ×3, first 2 shown]
	ds_write2_b64 v226, v[108:109], v[2:3] offset1:2
	ds_write_b64 v226, v[0:1] offset:32
	v_pk_add_f32 v[0:1], v[232:233], v[248:249]
	v_pk_add_f32 v[2:3], v[232:233], v[248:249] neg_lo:[0,1] neg_hi:[0,1]
	v_pk_fma_f32 v[0:1], v[0:1], 0.5, v[116:117] op_sel_hi:[1,0,1] neg_lo:[1,0,0] neg_hi:[1,0,0]
	v_pk_mul_f32 v[2:3], v[2:3], s[0:1] op_sel_hi:[1,0]
	v_pk_add_f32 v[110:111], v[116:117], v[232:233]
	v_pk_add_f32 v[108:109], v[0:1], v[2:3] op_sel:[0,1] op_sel_hi:[1,0] neg_lo:[0,1] neg_hi:[0,1]
	v_pk_add_f32 v[0:1], v[0:1], v[2:3] op_sel:[0,1] op_sel_hi:[1,0]
	v_pk_add_f32 v[110:111], v[110:111], v[248:249]
	v_mov_b32_e32 v2, v108
	v_mov_b32_e32 v3, v1
	;; [unrolled: 1-line block ×3, first 2 shown]
	ds_write2_b64 v159, v[110:111], v[2:3] offset1:2
	ds_write_b64 v159, v[0:1] offset:32
	v_pk_add_f32 v[0:1], v[178:179], v[180:181]
	v_pk_add_f32 v[2:3], v[178:179], v[180:181] neg_lo:[0,1] neg_hi:[0,1]
	v_pk_fma_f32 v[0:1], v[0:1], 0.5, v[118:119] op_sel_hi:[1,0,1] neg_lo:[1,0,0] neg_hi:[1,0,0]
	v_pk_mul_f32 v[2:3], v[2:3], s[0:1] op_sel_hi:[1,0]
	v_mov_b32_e32 v131, v105
	v_pk_add_f32 v[108:109], v[0:1], v[2:3] op_sel:[0,1] op_sel_hi:[1,0] neg_lo:[0,1] neg_hi:[0,1]
	v_pk_add_f32 v[0:1], v[0:1], v[2:3] op_sel:[0,1] op_sel_hi:[1,0]
	v_mov_b32_e32 v2, v108
	v_mov_b32_e32 v3, v1
	;; [unrolled: 1-line block ×3, first 2 shown]
	ds_write2_b64 v149, v[230:231], v[2:3] offset1:2
	ds_write_b64 v149, v[0:1] offset:32
	v_pk_add_f32 v[0:1], v[128:129], v[130:131]
	v_pk_add_f32 v[2:3], v[128:129], v[130:131] neg_lo:[0,1] neg_hi:[0,1]
	v_pk_fma_f32 v[0:1], v[0:1], 0.5, v[112:113] op_sel_hi:[1,0,1] neg_lo:[1,0,0] neg_hi:[1,0,0]
	v_pk_mul_f32 v[2:3], v[2:3], s[0:1] op_sel_hi:[1,0]
	v_pk_add_f32 v[104:105], v[112:113], v[128:129]
	v_pk_add_f32 v[108:109], v[0:1], v[2:3] op_sel:[0,1] op_sel_hi:[1,0] neg_lo:[0,1] neg_hi:[0,1]
	v_pk_add_f32 v[0:1], v[0:1], v[2:3] op_sel:[0,1] op_sel_hi:[1,0]
	v_pk_add_f32 v[104:105], v[104:105], v[130:131]
	v_mov_b32_e32 v2, v108
	v_mov_b32_e32 v3, v1
	;; [unrolled: 1-line block ×3, first 2 shown]
	ds_write2_b64 v133, v[104:105], v[2:3] offset1:2
	ds_write_b64 v133, v[0:1] offset:32
	s_waitcnt lgkmcnt(0)
	s_barrier
	ds_read2_b64 v[0:3], v227 offset0:112 offset1:238
	ds_read2_b64 v[108:111], v228 offset0:120 offset1:246
	ds_read_b64 v[104:105], v132 offset:14112
	s_waitcnt lgkmcnt(2)
	v_pk_mul_f32 v[32:33], v[32:33], v[2:3]
	s_nop 0
	v_pk_fma_f32 v[116:117], v[220:221], v[2:3], v[32:33] op_sel:[0,0,1] op_sel_hi:[1,1,0]
	v_pk_fma_f32 v[2:3], v[220:221], v[2:3], v[32:33] op_sel:[0,0,1] op_sel_hi:[1,1,0] neg_lo:[0,0,1] neg_hi:[0,0,1]
	s_waitcnt lgkmcnt(1)
	v_pk_mul_f32 v[12:13], v[12:13], v[110:111]
	v_mov_b32_e32 v117, v3
	s_waitcnt lgkmcnt(0)
	v_pk_mul_f32 v[2:3], v[34:35], v[104:105]
	s_nop 0
	v_pk_fma_f32 v[118:119], v[218:219], v[104:105], v[2:3] op_sel:[0,0,1] op_sel_hi:[1,1,0]
	v_pk_fma_f32 v[2:3], v[218:219], v[104:105], v[2:3] op_sel:[0,0,1] op_sel_hi:[1,1,0] neg_lo:[0,0,1] neg_hi:[0,0,1]
	s_nop 0
	v_mov_b32_e32 v119, v3
	v_pk_add_f32 v[2:3], v[116:117], v[118:119]
	v_pk_add_f32 v[32:33], v[116:117], v[118:119] neg_lo:[0,1] neg_hi:[0,1]
	v_pk_fma_f32 v[2:3], v[2:3], 0.5, v[108:109] op_sel_hi:[1,0,1] neg_lo:[1,0,0] neg_hi:[1,0,0]
	v_pk_mul_f32 v[32:33], v[32:33], s[0:1] op_sel_hi:[1,0]
	s_nop 0
	v_pk_add_f32 v[104:105], v[2:3], v[32:33] op_sel:[0,1] op_sel_hi:[1,0]
	v_pk_add_f32 v[120:121], v[2:3], v[32:33] op_sel:[0,1] op_sel_hi:[1,0] neg_lo:[0,1] neg_hi:[0,1]
	ds_read2_b64 v[32:35], v247 offset0:124 offset1:250
	ds_read2_b64 v[112:115], v254 offset0:104 offset1:230
	v_pk_mul_f32 v[2:3], v[28:29], v[0:1]
	s_nop 0
	v_pk_fma_f32 v[122:123], v[216:217], v[0:1], v[2:3] op_sel:[0,0,1] op_sel_hi:[1,1,0]
	v_pk_fma_f32 v[0:1], v[216:217], v[0:1], v[2:3] op_sel:[0,0,1] op_sel_hi:[1,1,0] neg_lo:[0,0,1] neg_hi:[0,0,1]
	s_nop 0
	v_mov_b32_e32 v123, v1
	s_waitcnt lgkmcnt(0)
	v_pk_mul_f32 v[0:1], v[30:31], v[114:115]
	s_nop 0
	v_pk_fma_f32 v[124:125], v[214:215], v[114:115], v[0:1] op_sel:[0,0,1] op_sel_hi:[1,1,0]
	v_pk_fma_f32 v[0:1], v[214:215], v[114:115], v[0:1] op_sel:[0,0,1] op_sel_hi:[1,1,0] neg_lo:[0,0,1] neg_hi:[0,0,1]
	s_nop 0
	v_mov_b32_e32 v125, v1
	v_pk_add_f32 v[0:1], v[122:123], v[124:125]
	v_pk_add_f32 v[30:31], v[122:123], v[124:125] neg_lo:[0,1] neg_hi:[0,1]
	v_pk_fma_f32 v[28:29], v[0:1], 0.5, v[34:35] op_sel_hi:[1,0,1] neg_lo:[1,0,0] neg_hi:[1,0,0]
	ds_read2_b64 v[0:3], v255 offset0:116 offset1:242
	v_pk_mul_f32 v[30:31], v[30:31], s[0:1] op_sel_hi:[1,0]
	s_waitcnt lgkmcnt(0)
	v_pk_mul_f32 v[24:25], v[24:25], v[2:3]
	s_nop 0
	v_pk_fma_f32 v[128:129], v[212:213], v[2:3], v[24:25] op_sel:[0,0,1] op_sel_hi:[1,1,0]
	v_pk_fma_f32 v[2:3], v[212:213], v[2:3], v[24:25] op_sel:[0,0,1] op_sel_hi:[1,1,0] neg_lo:[0,0,1] neg_hi:[0,0,1]
	v_pk_add_f32 v[114:115], v[28:29], v[30:31] op_sel:[0,1] op_sel_hi:[1,0]
	v_mov_b32_e32 v129, v3
	v_pk_mul_f32 v[2:3], v[26:27], v[112:113]
	v_pk_add_f32 v[126:127], v[28:29], v[30:31] op_sel:[0,1] op_sel_hi:[1,0] neg_lo:[0,1] neg_hi:[0,1]
	v_pk_fma_f32 v[130:131], v[210:211], v[112:113], v[2:3] op_sel:[0,0,1] op_sel_hi:[1,1,0]
	v_pk_fma_f32 v[2:3], v[210:211], v[112:113], v[2:3] op_sel:[0,0,1] op_sel_hi:[1,1,0] neg_lo:[0,0,1] neg_hi:[0,0,1]
	v_pk_mul_f32 v[20:21], v[20:21], v[0:1]
	v_mov_b32_e32 v131, v3
	v_pk_add_f32 v[2:3], v[128:129], v[130:131]
	v_pk_add_f32 v[24:25], v[128:129], v[130:131] neg_lo:[0,1] neg_hi:[0,1]
	v_pk_fma_f32 v[2:3], v[2:3], 0.5, v[32:33] op_sel_hi:[1,0,1] neg_lo:[1,0,0] neg_hi:[1,0,0]
	v_pk_mul_f32 v[24:25], v[24:25], s[0:1] op_sel_hi:[1,0]
	v_pk_fma_f32 v[178:179], v[208:209], v[0:1], v[20:21] op_sel:[0,0,1] op_sel_hi:[1,1,0]
	v_pk_add_f32 v[112:113], v[2:3], v[24:25] op_sel:[0,1] op_sel_hi:[1,0]
	v_pk_add_f32 v[2:3], v[2:3], v[24:25] op_sel:[0,1] op_sel_hi:[1,0] neg_lo:[0,1] neg_hi:[0,1]
	ds_read2_b64 v[24:27], v132 offset1:126
	ds_read2_b64 v[28:31], v244 offset0:108 offset1:234
	v_pk_fma_f32 v[0:1], v[208:209], v[0:1], v[20:21] op_sel:[0,0,1] op_sel_hi:[1,1,0] neg_lo:[0,0,1] neg_hi:[0,0,1]
	s_waitcnt lgkmcnt(0)
	v_mov_b32_e32 v179, v1
	s_barrier
	v_pk_mul_f32 v[0:1], v[22:23], v[30:31]
	v_pk_fma_f32 v[22:23], v[204:205], v[110:111], v[12:13] op_sel:[0,0,1] op_sel_hi:[1,1,0]
	v_pk_fma_f32 v[12:13], v[204:205], v[110:111], v[12:13] op_sel:[0,0,1] op_sel_hi:[1,1,0] neg_lo:[0,0,1] neg_hi:[0,0,1]
	v_pk_fma_f32 v[20:21], v[206:207], v[30:31], v[0:1] op_sel:[0,0,1] op_sel_hi:[1,1,0]
	v_mov_b32_e32 v23, v13
	v_pk_mul_f32 v[12:13], v[14:15], v[28:29]
	v_pk_fma_f32 v[0:1], v[206:207], v[30:31], v[0:1] op_sel:[0,0,1] op_sel_hi:[1,1,0] neg_lo:[0,0,1] neg_hi:[0,0,1]
	v_pk_fma_f32 v[14:15], v[202:203], v[28:29], v[12:13] op_sel:[0,0,1] op_sel_hi:[1,1,0]
	v_pk_fma_f32 v[12:13], v[202:203], v[28:29], v[12:13] op_sel:[0,0,1] op_sel_hi:[1,1,0] neg_lo:[0,0,1] neg_hi:[0,0,1]
	v_mov_b32_e32 v21, v1
	v_mov_b32_e32 v15, v13
	v_pk_add_f32 v[12:13], v[24:25], v[22:23]
	v_pk_add_f32 v[28:29], v[22:23], v[14:15]
	;; [unrolled: 1-line block ×3, first 2 shown]
	v_pk_add_f32 v[14:15], v[22:23], v[14:15] neg_lo:[0,1] neg_hi:[0,1]
	v_pk_fma_f32 v[24:25], v[28:29], 0.5, v[24:25] op_sel_hi:[1,0,1] neg_lo:[1,0,0] neg_hi:[1,0,0]
	v_pk_mul_f32 v[14:15], v[14:15], s[0:1] op_sel_hi:[1,0]
	s_nop 0
	v_pk_add_f32 v[22:23], v[24:25], v[14:15] op_sel:[0,1] op_sel_hi:[1,0] neg_lo:[0,1] neg_hi:[0,1]
	v_pk_add_f32 v[14:15], v[24:25], v[14:15] op_sel:[0,1] op_sel_hi:[1,0]
	v_mov_b32_e32 v24, v22
	v_mov_b32_e32 v25, v15
	;; [unrolled: 1-line block ×3, first 2 shown]
	ds_write2_b64 v234, v[12:13], v[24:25] offset1:6
	ds_write_b64 v234, v[14:15] offset:96
	v_pk_add_f32 v[12:13], v[178:179], v[20:21]
	v_pk_add_f32 v[14:15], v[178:179], v[20:21] neg_lo:[0,1] neg_hi:[0,1]
	v_pk_add_f32 v[0:1], v[26:27], v[178:179]
	v_pk_fma_f32 v[12:13], v[12:13], 0.5, v[26:27] op_sel_hi:[1,0,1] neg_lo:[1,0,0] neg_hi:[1,0,0]
	v_pk_mul_f32 v[14:15], v[14:15], s[0:1] op_sel_hi:[1,0]
	v_pk_add_f32 v[0:1], v[0:1], v[20:21]
	v_pk_add_f32 v[20:21], v[12:13], v[14:15] op_sel:[0,1] op_sel_hi:[1,0] neg_lo:[0,1] neg_hi:[0,1]
	v_pk_add_f32 v[12:13], v[12:13], v[14:15] op_sel:[0,1] op_sel_hi:[1,0]
	v_mov_b32_e32 v14, v20
	v_mov_b32_e32 v15, v13
	ds_write2_b64 v238, v[0:1], v[14:15] offset1:6
	v_mov_b32_e32 v13, v21
	v_pk_add_f32 v[0:1], v[32:33], v[128:129]
	ds_write_b64 v238, v[12:13] offset:96
	v_pk_add_f32 v[0:1], v[0:1], v[130:131]
	v_mov_b32_e32 v12, v2
	v_mov_b32_e32 v13, v113
	ds_write2_b64 v237, v[0:1], v[12:13] offset1:6
	v_pk_add_f32 v[0:1], v[34:35], v[122:123]
	v_mov_b32_e32 v113, v3
	v_pk_add_f32 v[0:1], v[0:1], v[124:125]
	v_mov_b32_e32 v2, v126
	v_mov_b32_e32 v3, v115
	ds_write_b64 v237, v[112:113] offset:96
	ds_write2_b64 v236, v[0:1], v[2:3] offset1:6
	v_pk_add_f32 v[0:1], v[108:109], v[116:117]
	v_mov_b32_e32 v115, v127
	v_pk_add_f32 v[0:1], v[0:1], v[118:119]
	v_mov_b32_e32 v2, v120
	v_mov_b32_e32 v3, v105
	;; [unrolled: 1-line block ×3, first 2 shown]
	ds_write_b64 v236, v[114:115] offset:96
	ds_write2_b64 v235, v[0:1], v[2:3] offset1:6
	ds_write_b64 v235, v[104:105] offset:96
	s_waitcnt lgkmcnt(0)
	s_barrier
	ds_read2_b64 v[0:3], v227 offset0:112 offset1:238
	ds_read_b64 v[20:21], v132 offset:14112
	ds_read2_b64 v[12:15], v228 offset0:120 offset1:246
                                        ; implicit-def: $vgpr116_vgpr117
	s_waitcnt lgkmcnt(2)
	v_pk_mul_f32 v[22:23], v[52:53], v[2:3]
	s_nop 0
	v_pk_fma_f32 v[32:33], v[200:201], v[2:3], v[22:23] op_sel:[0,0,1] op_sel_hi:[1,1,0]
	v_pk_fma_f32 v[2:3], v[200:201], v[2:3], v[22:23] op_sel:[0,0,1] op_sel_hi:[1,1,0] neg_lo:[0,0,1] neg_hi:[0,0,1]
	s_nop 0
	v_mov_b32_e32 v33, v3
	s_waitcnt lgkmcnt(1)
	v_pk_mul_f32 v[2:3], v[54:55], v[20:21]
	s_nop 0
	v_pk_fma_f32 v[34:35], v[198:199], v[20:21], v[2:3] op_sel:[0,0,1] op_sel_hi:[1,1,0]
	v_pk_fma_f32 v[2:3], v[198:199], v[20:21], v[2:3] op_sel:[0,0,1] op_sel_hi:[1,1,0] neg_lo:[0,0,1] neg_hi:[0,0,1]
	s_nop 0
	v_mov_b32_e32 v35, v3
	v_pk_add_f32 v[2:3], v[32:33], v[34:35]
	v_pk_add_f32 v[20:21], v[32:33], v[34:35] neg_lo:[0,1] neg_hi:[0,1]
	s_waitcnt lgkmcnt(0)
	v_pk_fma_f32 v[2:3], v[2:3], 0.5, v[12:13] op_sel_hi:[1,0,1] neg_lo:[1,0,0] neg_hi:[1,0,0]
	v_pk_mul_f32 v[20:21], v[20:21], s[0:1] op_sel_hi:[1,0]
	s_nop 0
	v_pk_add_f32 v[54:55], v[2:3], v[20:21] op_sel:[0,1] op_sel_hi:[1,0]
	v_pk_add_f32 v[104:105], v[2:3], v[20:21] op_sel:[0,1] op_sel_hi:[1,0] neg_lo:[0,1] neg_hi:[0,1]
	ds_read2_b64 v[20:23], v247 offset0:124 offset1:250
	ds_read2_b64 v[24:27], v254 offset0:104 offset1:230
	v_pk_mul_f32 v[2:3], v[48:49], v[0:1]
	v_mov_b32_e32 v53, v105
	v_pk_fma_f32 v[48:49], v[196:197], v[0:1], v[2:3] op_sel:[0,0,1] op_sel_hi:[1,1,0]
	v_pk_fma_f32 v[0:1], v[196:197], v[0:1], v[2:3] op_sel:[0,0,1] op_sel_hi:[1,1,0] neg_lo:[0,0,1] neg_hi:[0,0,1]
	v_mov_b32_e32 v105, v55
	v_mov_b32_e32 v49, v1
	s_waitcnt lgkmcnt(0)
	v_pk_mul_f32 v[0:1], v[50:51], v[26:27]
	v_mov_b32_e32 v52, v54
	v_pk_fma_f32 v[50:51], v[194:195], v[26:27], v[0:1] op_sel:[0,0,1] op_sel_hi:[1,1,0]
	v_pk_fma_f32 v[0:1], v[194:195], v[26:27], v[0:1] op_sel:[0,0,1] op_sel_hi:[1,1,0] neg_lo:[0,0,1] neg_hi:[0,0,1]
	s_nop 0
	v_mov_b32_e32 v51, v1
	v_pk_add_f32 v[0:1], v[48:49], v[50:51]
	v_pk_add_f32 v[28:29], v[48:49], v[50:51] neg_lo:[0,1] neg_hi:[0,1]
	v_pk_fma_f32 v[26:27], v[0:1], 0.5, v[22:23] op_sel_hi:[1,0,1] neg_lo:[1,0,0] neg_hi:[1,0,0]
	ds_read2_b64 v[0:3], v255 offset0:116 offset1:242
	v_pk_mul_f32 v[28:29], v[28:29], s[0:1] op_sel_hi:[1,0]
	s_waitcnt lgkmcnt(0)
	v_pk_mul_f32 v[56:57], v[56:57], v[0:1]
	v_pk_add_f32 v[108:109], v[26:27], v[28:29] op_sel:[0,1] op_sel_hi:[1,0]
	v_pk_add_f32 v[110:111], v[26:27], v[28:29] op_sel:[0,1] op_sel_hi:[1,0] neg_lo:[0,1] neg_hi:[0,1]
	v_pk_mul_f32 v[26:27], v[44:45], v[2:3]
	v_pk_fma_f32 v[114:115], v[188:189], v[0:1], v[56:57] op_sel:[0,0,1] op_sel_hi:[1,1,0]
	v_pk_fma_f32 v[44:45], v[192:193], v[2:3], v[26:27] op_sel:[0,0,1] op_sel_hi:[1,1,0]
	v_pk_fma_f32 v[2:3], v[192:193], v[2:3], v[26:27] op_sel:[0,0,1] op_sel_hi:[1,1,0] neg_lo:[0,0,1] neg_hi:[0,0,1]
	v_pk_fma_f32 v[0:1], v[188:189], v[0:1], v[56:57] op_sel:[0,0,1] op_sel_hi:[1,1,0] neg_lo:[0,0,1] neg_hi:[0,0,1]
	v_mov_b32_e32 v45, v3
	v_pk_mul_f32 v[2:3], v[46:47], v[24:25]
	v_mov_b32_e32 v115, v1
	v_pk_fma_f32 v[46:47], v[190:191], v[24:25], v[2:3] op_sel:[0,0,1] op_sel_hi:[1,1,0]
	v_pk_fma_f32 v[2:3], v[190:191], v[24:25], v[2:3] op_sel:[0,0,1] op_sel_hi:[1,1,0] neg_lo:[0,0,1] neg_hi:[0,0,1]
	s_nop 0
	v_mov_b32_e32 v47, v3
	v_pk_add_f32 v[2:3], v[44:45], v[46:47]
	v_pk_add_f32 v[24:25], v[44:45], v[46:47] neg_lo:[0,1] neg_hi:[0,1]
	v_pk_fma_f32 v[2:3], v[2:3], 0.5, v[20:21] op_sel_hi:[1,0,1] neg_lo:[1,0,0] neg_hi:[1,0,0]
	v_pk_mul_f32 v[24:25], v[24:25], s[0:1] op_sel_hi:[1,0]
	s_nop 0
	v_pk_add_f32 v[112:113], v[2:3], v[24:25] op_sel:[0,1] op_sel_hi:[1,0]
	v_pk_add_f32 v[2:3], v[2:3], v[24:25] op_sel:[0,1] op_sel_hi:[1,0] neg_lo:[0,1] neg_hi:[0,1]
	ds_read2_b64 v[24:27], v132 offset1:126
	ds_read2_b64 v[28:31], v244 offset0:108 offset1:234
	s_waitcnt lgkmcnt(0)
	s_barrier
	v_pk_mul_f32 v[0:1], v[58:59], v[30:31]
	s_nop 0
	v_pk_fma_f32 v[56:57], v[186:187], v[30:31], v[0:1] op_sel:[0,0,1] op_sel_hi:[1,1,0]
	v_pk_fma_f32 v[0:1], v[186:187], v[30:31], v[0:1] op_sel:[0,0,1] op_sel_hi:[1,1,0] neg_lo:[0,0,1] neg_hi:[0,0,1]
	v_pk_mul_f32 v[30:31], v[64:65], v[14:15]
	v_mov_b32_e32 v57, v1
	v_pk_fma_f32 v[58:59], v[184:185], v[14:15], v[30:31] op_sel:[0,0,1] op_sel_hi:[1,1,0]
	v_pk_fma_f32 v[14:15], v[184:185], v[14:15], v[30:31] op_sel:[0,0,1] op_sel_hi:[1,1,0] neg_lo:[0,0,1] neg_hi:[0,0,1]
	v_pk_add_f32 v[0:1], v[26:27], v[114:115]
	v_mov_b32_e32 v59, v15
	v_pk_mul_f32 v[14:15], v[66:67], v[28:29]
	v_pk_add_f32 v[0:1], v[0:1], v[56:57]
	v_pk_fma_f32 v[30:31], v[182:183], v[28:29], v[14:15] op_sel:[0,0,1] op_sel_hi:[1,1,0]
	v_pk_fma_f32 v[14:15], v[182:183], v[28:29], v[14:15] op_sel:[0,0,1] op_sel_hi:[1,1,0] neg_lo:[0,0,1] neg_hi:[0,0,1]
	s_nop 0
	v_mov_b32_e32 v31, v15
	v_pk_add_f32 v[28:29], v[58:59], v[30:31]
	v_pk_add_f32 v[14:15], v[24:25], v[58:59]
	v_pk_fma_f32 v[24:25], v[28:29], 0.5, v[24:25] op_sel_hi:[1,0,1] neg_lo:[1,0,0] neg_hi:[1,0,0]
	v_pk_add_f32 v[28:29], v[58:59], v[30:31] neg_lo:[0,1] neg_hi:[0,1]
	v_pk_add_f32 v[14:15], v[14:15], v[30:31]
	v_pk_mul_f32 v[28:29], v[28:29], s[0:1] op_sel_hi:[1,0]
	s_nop 0
	v_pk_add_f32 v[30:31], v[24:25], v[28:29] op_sel:[0,1] op_sel_hi:[1,0] neg_lo:[0,1] neg_hi:[0,1]
	v_pk_add_f32 v[24:25], v[24:25], v[28:29] op_sel:[0,1] op_sel_hi:[1,0]
	v_mov_b32_e32 v28, v30
	v_mov_b32_e32 v29, v25
	;; [unrolled: 1-line block ×3, first 2 shown]
	ds_write2_b64 v239, v[14:15], v[28:29] offset1:18
	ds_write_b64 v239, v[24:25] offset:288
	v_pk_add_f32 v[14:15], v[114:115], v[56:57]
	v_pk_add_f32 v[24:25], v[114:115], v[56:57] neg_lo:[0,1] neg_hi:[0,1]
	v_pk_fma_f32 v[14:15], v[14:15], 0.5, v[26:27] op_sel_hi:[1,0,1] neg_lo:[1,0,0] neg_hi:[1,0,0]
	v_pk_mul_f32 v[24:25], v[24:25], s[0:1] op_sel_hi:[1,0]
	v_add_u32_e32 v28, 0x3000, v132
	v_pk_add_f32 v[26:27], v[14:15], v[24:25] op_sel:[0,1] op_sel_hi:[1,0] neg_lo:[0,1] neg_hi:[0,1]
	v_pk_add_f32 v[14:15], v[14:15], v[24:25] op_sel:[0,1] op_sel_hi:[1,0]
	v_mov_b32_e32 v24, v26
	v_mov_b32_e32 v25, v15
	ds_write2_b64 v240, v[0:1], v[24:25] offset1:18
	v_mov_b32_e32 v15, v27
	v_pk_add_f32 v[0:1], v[20:21], v[44:45]
	ds_write_b64 v240, v[14:15] offset:288
	v_pk_add_f32 v[0:1], v[0:1], v[46:47]
	v_mov_b32_e32 v14, v2
	v_mov_b32_e32 v15, v113
	ds_write2_b64 v241, v[0:1], v[14:15] offset1:18
	v_pk_add_f32 v[0:1], v[22:23], v[48:49]
	v_mov_b32_e32 v113, v3
	v_pk_add_f32 v[0:1], v[0:1], v[50:51]
	v_mov_b32_e32 v2, v110
	v_mov_b32_e32 v3, v109
	ds_write_b64 v241, v[112:113] offset:288
	ds_write2_b64 v242, v[0:1], v[2:3] offset1:18
	v_pk_add_f32 v[0:1], v[12:13], v[32:33]
	v_mov_b32_e32 v109, v111
	v_pk_add_f32 v[0:1], v[0:1], v[34:35]
	v_add_u32_e32 v24, 0x1800, v132
	ds_write_b64 v242, v[108:109] offset:288
	ds_write2_b64 v243, v[0:1], v[104:105] offset1:18
	ds_write_b64 v243, v[52:53] offset:288
	s_waitcnt lgkmcnt(0)
	s_barrier
	ds_read2_b64 v[44:47], v24 offset0:42 offset1:168
	v_add_u32_e32 v24, 0x2000, v132
	v_add_u32_e32 v12, 0x800, v132
	;; [unrolled: 1-line block ×3, first 2 shown]
	ds_read2_b64 v[32:35], v24 offset0:56 offset1:182
	v_add_u32_e32 v24, 0x2800, v132
	ds_read2_b64 v[0:3], v132 offset1:126
	ds_read2_b64 v[12:15], v12 offset0:14 offset1:140
	ds_read2_b64 v[20:23], v20 offset0:28 offset1:154
	;; [unrolled: 1-line block ×4, first 2 shown]
                                        ; implicit-def: $vgpr114_vgpr115
	s_and_saveexec_b64 s[0:1], s[4:5]
	s_xor_b64 s[0:1], exec, s[0:1]
; %bb.18:
	v_mov_b32_e32 v114, v106
	v_mov_b32_e32 v115, v177
	;; [unrolled: 1-line block ×4, first 2 shown]
; %bb.19:
	s_andn2_saveexec_b64 s[0:1], s[0:1]
	s_cbranch_execz .LBB0_21
; %bb.20:
	ds_read_b64 v[48:49], v132 offset:8496
	ds_read_b64 v[50:51], v132 offset:14976
	;; [unrolled: 1-line block ×7, first 2 shown]
	s_waitcnt lgkmcnt(5)
	v_mov_b32_e32 v168, v50
	v_mov_b32_e32 v169, v49
	;; [unrolled: 1-line block ×4, first 2 shown]
	s_waitcnt lgkmcnt(3)
	v_mov_b32_e32 v114, v54
	s_waitcnt lgkmcnt(1)
	v_mov_b32_e32 v115, v57
	v_mov_b32_e32 v116, v55
	;; [unrolled: 1-line block ×3, first 2 shown]
.LBB0_21:
	s_or_b64 exec, exec, s[0:1]
	s_waitcnt lgkmcnt(6)
	v_pk_mul_f32 v[130:131], v[72:73], v[44:45] op_sel:[0,1] op_sel_hi:[1,0]
	s_waitcnt lgkmcnt(3)
	v_pk_mul_f32 v[118:119], v[60:61], v[12:13] op_sel_hi:[1,0]
	v_mov_b32_e32 v120, v13
	v_mov_b32_e32 v128, v73
	;; [unrolled: 1-line block ×3, first 2 shown]
	v_pk_mul_f32 v[176:177], v[74:75], v[32:33] op_sel:[0,1] op_sel_hi:[1,0]
	s_waitcnt lgkmcnt(2)
	v_pk_mul_f32 v[122:123], v[62:63], v[20:21] op_sel_hi:[1,0]
	v_mov_b32_e32 v124, v21
	v_pk_mul_f32 v[126:127], v[72:73], v[44:45]
	v_pk_mul_f32 v[128:129], v[128:129], v[44:45] op_sel:[0,1] op_sel_hi:[1,0]
	v_pk_fma_f32 v[44:45], v[72:73], v[44:45], v[130:131] op_sel:[0,1,0] op_sel_hi:[1,0,1] neg_lo:[0,0,1] neg_hi:[0,0,1]
	v_mov_b32_e32 v130, v75
	v_mov_b32_e32 v176, v177
	v_pk_fma_f32 v[120:121], v[60:61], v[120:121], v[118:119] op_sel:[0,0,1] op_sel_hi:[1,1,0] neg_lo:[0,0,1] neg_hi:[0,0,1]
	v_pk_fma_f32 v[12:13], v[60:61], v[12:13], v[118:119] op_sel:[0,1,1] op_sel_hi:[1,1,0]
	v_pk_mul_f32 v[72:73], v[74:75], v[32:33]
	v_pk_mul_f32 v[130:131], v[130:131], v[32:33] op_sel:[0,1] op_sel_hi:[1,0]
	v_pk_fma_f32 v[32:33], v[74:75], v[32:33], v[176:177] op_sel:[0,1,0] op_sel_hi:[1,0,1] neg_lo:[0,0,1] neg_hi:[0,0,1]
	s_waitcnt lgkmcnt(1)
	v_pk_mul_f32 v[74:75], v[68:69], v[24:25] op_sel_hi:[1,0]
	v_mov_b32_e32 v176, v25
	v_mov_b32_e32 v121, v13
	v_pk_fma_f32 v[12:13], v[62:63], v[124:125], v[122:123] op_sel:[0,0,1] op_sel_hi:[1,1,0] neg_lo:[0,0,1] neg_hi:[0,0,1]
	v_pk_fma_f32 v[20:21], v[62:63], v[20:21], v[122:123] op_sel:[0,1,1] op_sel_hi:[1,1,0]
	s_waitcnt lgkmcnt(0)
	v_pk_mul_f32 v[178:179], v[70:71], v[28:29] op_sel_hi:[1,0]
	v_mov_b32_e32 v180, v29
	v_mov_b32_e32 v13, v21
	v_pk_fma_f32 v[20:21], v[68:69], v[176:177], v[74:75] op_sel:[0,0,1] op_sel_hi:[1,1,0] neg_lo:[0,0,1] neg_hi:[0,0,1]
	v_pk_fma_f32 v[24:25], v[68:69], v[24:25], v[74:75] op_sel:[0,1,1] op_sel_hi:[1,1,0]
	v_pk_fma_f32 v[28:29], v[70:71], v[28:29], v[178:179] op_sel:[0,1,1] op_sel_hi:[1,1,0]
	v_mov_b32_e32 v21, v25
	v_pk_fma_f32 v[24:25], v[70:71], v[180:181], v[178:179] op_sel:[0,0,1] op_sel_hi:[1,1,0] neg_lo:[0,0,1] neg_hi:[0,0,1]
	v_mov_b32_e32 v73, v120
	v_mov_b32_e32 v25, v29
	;; [unrolled: 1-line block ×5, first 2 shown]
	v_pk_add_f32 v[28:29], v[120:121], v[24:25]
	v_pk_add_f32 v[60:61], v[120:121], v[24:25] neg_lo:[0,1] neg_hi:[0,1]
	v_pk_add_f32 v[62:63], v[12:13], v[20:21]
	v_pk_add_f32 v[68:69], v[12:13], v[20:21] neg_lo:[0,1] neg_hi:[0,1]
	v_pk_add_f32 v[24:25], v[72:73], v[130:131]
	v_pk_add_f32 v[12:13], v[126:127], v[128:129]
	v_mov_b32_e32 v33, v24
	v_mov_b32_e32 v45, v12
	v_pk_add_f32 v[20:21], v[32:33], v[44:45] neg_lo:[0,1] neg_hi:[0,1]
	v_mov_b32_e32 v118, v63
	v_mov_b32_e32 v119, v44
	;; [unrolled: 1-line block ×4, first 2 shown]
	v_pk_add_f32 v[32:33], v[118:119], v[44:45]
	v_pk_add_f32 v[44:45], v[12:13], v[24:25]
	v_mov_b32_e32 v70, v20
	v_mov_b32_e32 v71, v61
	v_mov_b32_e32 v72, v68
	v_mov_b32_e32 v73, v21
	s_mov_b32 s4, 0x3f08b237
	v_mov_b32_e32 v24, v44
	v_mov_b32_e32 v119, v33
	s_mov_b32 s20, 0x3d64c772
	v_pk_add_f32 v[70:71], v[70:71], v[72:73] neg_lo:[0,1] neg_hi:[0,1]
	s_mov_b32 s5, 0xbeae86e6
	v_mov_b32_e32 v72, v60
	v_mov_b32_e32 v74, v20
	;; [unrolled: 1-line block ×3, first 2 shown]
	v_pk_add_f32 v[118:119], v[24:25], v[118:119] neg_lo:[0,1] neg_hi:[0,1]
	v_mov_b32_e32 v120, v29
	v_mov_b32_e32 v121, v33
	;; [unrolled: 1-line block ×3, first 2 shown]
	v_pk_add_f32 v[32:33], v[32:33], v[44:45]
	s_mov_b32 s21, 0x3f4a47b2
	v_pk_mul_f32 v[70:71], v[70:71], s[4:5]
	v_pk_add_f32 v[72:73], v[72:73], v[74:75] neg_lo:[0,1] neg_hi:[0,1]
	s_mov_b32 s14, s5
	s_mov_b32 s15, s4
	v_pk_add_f32 v[20:21], v[20:21], v[68:69]
	v_pk_add_f32 v[120:121], v[120:121], v[12:13] neg_lo:[0,1] neg_hi:[0,1]
	v_pk_add_f32 v[0:1], v[0:1], v[32:33]
	s_mov_b32 s24, 0x3f955555
	v_pk_mul_f32 v[44:45], v[118:119], s[20:21]
	s_mov_b32 s22, s21
	s_mov_b32 s23, s20
	v_pk_mul_f32 v[74:75], v[72:73], s[14:15]
	v_pk_add_f32 v[20:21], v[20:21], v[60:61]
	s_mov_b32 s0, 0xbee1c552
	v_pk_mul_f32 v[118:119], v[120:121], s[22:23]
	v_pk_fma_f32 v[32:33], v[32:33], s[24:25], v[0:1] op_sel_hi:[1,0,1] neg_lo:[1,0,0] neg_hi:[1,0,0]
	v_pk_fma_f32 v[120:121], v[120:121], s[22:23], v[44:45]
	v_pk_fma_f32 v[72:73], v[72:73], s[14:15], v[70:71]
	v_pk_add_f32 v[120:121], v[120:121], v[32:33]
	v_pk_fma_f32 v[72:73], v[20:21], s[0:1], v[72:73] op_sel_hi:[1,0,1]
	v_mov_b32_e32 v12, v63
	v_pk_add_f32 v[122:123], v[120:121], v[72:73]
	v_pk_add_f32 v[72:73], v[120:121], v[72:73] neg_lo:[0,1] neg_hi:[0,1]
	v_mov_b32_e32 v120, v122
	v_mov_b32_e32 v121, v73
	;; [unrolled: 1-line block ×3, first 2 shown]
	s_barrier
	ds_write2_b64 v245, v[0:1], v[120:121] offset1:54
	v_pk_add_f32 v[0:1], v[68:69], v[60:61] neg_lo:[0,1] neg_hi:[0,1]
	s_mov_b32 s16, 0xbf5ff5aa
	v_pk_add_f32 v[12:13], v[12:13], v[24:25] neg_lo:[0,1] neg_hi:[0,1]
	s_mov_b32 s18, 0x3f3bfb3b
	v_mov_b32_e32 v24, v118
	v_mov_b32_e32 v25, v45
	;; [unrolled: 1-line block ×6, first 2 shown]
	v_pk_fma_f32 v[24:25], v[12:13], s[18:19], v[24:25] op_sel_hi:[1,0,1] neg_lo:[1,0,1] neg_hi:[1,0,1]
	v_pk_fma_f32 v[28:29], v[0:1], s[16:17], v[28:29] op_sel_hi:[1,0,1] neg_lo:[1,0,1] neg_hi:[1,0,1]
	v_pk_fma_f32 v[12:13], v[12:13], s[18:19], v[44:45] op_sel_hi:[1,0,1] neg_lo:[0,0,1] neg_hi:[0,0,1]
	v_pk_fma_f32 v[0:1], v[0:1], s[16:17], v[70:71] op_sel_hi:[1,0,1] neg_lo:[0,0,1] neg_hi:[0,0,1]
	v_pk_add_f32 v[24:25], v[24:25], v[32:33]
	v_pk_fma_f32 v[28:29], v[20:21], s[0:1], v[28:29] op_sel_hi:[1,0,1]
	v_pk_add_f32 v[12:13], v[12:13], v[32:33]
	v_pk_fma_f32 v[0:1], v[20:21], s[0:1], v[0:1] op_sel_hi:[1,0,1]
	v_pk_add_f32 v[60:61], v[24:25], v[28:29]
	v_pk_add_f32 v[24:25], v[24:25], v[28:29] neg_lo:[0,1] neg_hi:[0,1]
	v_pk_add_f32 v[20:21], v[12:13], v[0:1] neg_lo:[0,1] neg_hi:[0,1]
	v_pk_add_f32 v[0:1], v[12:13], v[0:1]
	v_pk_mul_f32 v[194:195], v[76:77], v[46:47] op_sel:[0,1] op_sel_hi:[1,0]
	v_mov_b32_e32 v28, v60
	v_mov_b32_e32 v29, v25
	v_mov_b32_e32 v12, v20
	v_mov_b32_e32 v13, v1
	v_pk_mul_f32 v[182:183], v[40:41], v[14:15] op_sel_hi:[1,0]
	v_mov_b32_e32 v184, v15
	v_mov_b32_e32 v192, v77
	;; [unrolled: 1-line block ×3, first 2 shown]
	v_pk_mul_f32 v[196:197], v[78:79], v[34:35] op_sel:[0,1] op_sel_hi:[1,0]
	ds_write2_b64 v245, v[28:29], v[12:13] offset0:108 offset1:162
	v_mov_b32_e32 v1, v21
	v_mov_b32_e32 v25, v61
	v_add_u32_e32 v12, 0x400, v245
	v_pk_mul_f32 v[186:187], v[42:43], v[22:23] op_sel_hi:[1,0]
	v_mov_b32_e32 v188, v23
	v_pk_mul_f32 v[190:191], v[76:77], v[46:47]
	v_pk_mul_f32 v[192:193], v[192:193], v[46:47] op_sel:[0,1] op_sel_hi:[1,0]
	v_pk_fma_f32 v[46:47], v[76:77], v[46:47], v[194:195] op_sel:[0,1,0] op_sel_hi:[1,0,1] neg_lo:[0,0,1] neg_hi:[0,0,1]
	v_mov_b32_e32 v194, v79
	v_mov_b32_e32 v196, v197
	ds_write2_b64 v12, v[0:1], v[24:25] offset0:88 offset1:142
	v_pk_fma_f32 v[0:1], v[40:41], v[184:185], v[182:183] op_sel:[0,0,1] op_sel_hi:[1,1,0] neg_lo:[0,0,1] neg_hi:[0,0,1]
	v_pk_fma_f32 v[12:13], v[40:41], v[14:15], v[182:183] op_sel:[0,1,1] op_sel_hi:[1,1,0]
	v_pk_mul_f32 v[76:77], v[78:79], v[34:35]
	v_pk_mul_f32 v[194:195], v[194:195], v[34:35] op_sel:[0,1] op_sel_hi:[1,0]
	v_pk_fma_f32 v[34:35], v[78:79], v[34:35], v[196:197] op_sel:[0,1,0] op_sel_hi:[1,0,1] neg_lo:[0,0,1] neg_hi:[0,0,1]
	v_pk_mul_f32 v[78:79], v[36:37], v[26:27] op_sel_hi:[1,0]
	v_mov_b32_e32 v196, v27
	v_mov_b32_e32 v1, v13
	v_pk_fma_f32 v[12:13], v[42:43], v[188:189], v[186:187] op_sel:[0,0,1] op_sel_hi:[1,1,0] neg_lo:[0,0,1] neg_hi:[0,0,1]
	v_pk_fma_f32 v[14:15], v[42:43], v[22:23], v[186:187] op_sel:[0,1,1] op_sel_hi:[1,1,0]
	v_pk_mul_f32 v[198:199], v[38:39], v[30:31] op_sel_hi:[1,0]
	v_mov_b32_e32 v200, v31
	v_mov_b32_e32 v13, v15
	v_pk_fma_f32 v[14:15], v[36:37], v[196:197], v[78:79] op_sel:[0,0,1] op_sel_hi:[1,1,0] neg_lo:[0,0,1] neg_hi:[0,0,1]
	v_pk_fma_f32 v[20:21], v[36:37], v[26:27], v[78:79] op_sel:[0,1,1] op_sel_hi:[1,1,0]
	v_pk_fma_f32 v[22:23], v[38:39], v[30:31], v[198:199] op_sel:[0,1,1] op_sel_hi:[1,1,0]
	v_mov_b32_e32 v15, v21
	v_pk_fma_f32 v[20:21], v[38:39], v[200:201], v[198:199] op_sel:[0,0,1] op_sel_hi:[1,1,0] neg_lo:[0,0,1] neg_hi:[0,0,1]
	v_mov_b32_e32 v77, v0
	v_mov_b32_e32 v21, v23
	;; [unrolled: 1-line block ×5, first 2 shown]
	v_pk_add_f32 v[22:23], v[0:1], v[20:21]
	v_pk_add_f32 v[24:25], v[0:1], v[20:21] neg_lo:[0,1] neg_hi:[0,1]
	v_pk_add_f32 v[26:27], v[12:13], v[14:15]
	v_pk_add_f32 v[28:29], v[12:13], v[14:15] neg_lo:[0,1] neg_hi:[0,1]
	v_pk_add_f32 v[0:1], v[76:77], v[194:195]
	v_pk_add_f32 v[12:13], v[190:191], v[192:193]
	v_mov_b32_e32 v35, v0
	v_mov_b32_e32 v47, v12
	;; [unrolled: 1-line block ×6, first 2 shown]
	v_pk_add_f32 v[14:15], v[34:35], v[46:47] neg_lo:[0,1] neg_hi:[0,1]
	v_pk_add_f32 v[34:35], v[36:37], v[38:39]
	v_pk_add_f32 v[36:37], v[12:13], v[0:1]
	v_mov_b32_e32 v20, v14
	v_mov_b32_e32 v21, v25
	;; [unrolled: 1-line block ×7, first 2 shown]
	v_pk_add_f32 v[20:21], v[20:21], v[30:31] neg_lo:[0,1] neg_hi:[0,1]
	v_mov_b32_e32 v30, v24
	v_mov_b32_e32 v32, v14
	;; [unrolled: 1-line block ×3, first 2 shown]
	v_pk_add_f32 v[38:39], v[0:1], v[38:39] neg_lo:[0,1] neg_hi:[0,1]
	v_mov_b32_e32 v40, v23
	v_mov_b32_e32 v41, v35
	;; [unrolled: 1-line block ×3, first 2 shown]
	v_pk_add_f32 v[34:35], v[34:35], v[36:37]
	v_pk_mul_f32 v[20:21], v[20:21], s[4:5]
	v_pk_add_f32 v[30:31], v[30:31], v[32:33] neg_lo:[0,1] neg_hi:[0,1]
	v_pk_add_f32 v[14:15], v[14:15], v[28:29]
	v_pk_add_f32 v[40:41], v[40:41], v[12:13] neg_lo:[0,1] neg_hi:[0,1]
	v_pk_add_f32 v[2:3], v[2:3], v[34:35]
	v_pk_mul_f32 v[36:37], v[38:39], s[20:21]
	v_pk_mul_f32 v[32:33], v[30:31], s[14:15]
	v_pk_add_f32 v[14:15], v[14:15], v[24:25]
	v_pk_mul_f32 v[38:39], v[40:41], s[22:23]
	v_pk_fma_f32 v[34:35], v[34:35], s[24:25], v[2:3] op_sel_hi:[1,0,1] neg_lo:[1,0,0] neg_hi:[1,0,0]
	v_pk_fma_f32 v[40:41], v[40:41], s[22:23], v[36:37]
	v_pk_fma_f32 v[30:31], v[30:31], s[14:15], v[20:21]
	v_pk_add_f32 v[40:41], v[40:41], v[34:35]
	v_pk_fma_f32 v[30:31], v[14:15], s[0:1], v[30:31] op_sel_hi:[1,0,1]
	v_mov_b32_e32 v73, v123
	v_pk_add_f32 v[42:43], v[40:41], v[30:31]
	v_pk_add_f32 v[30:31], v[40:41], v[30:31] neg_lo:[0,1] neg_hi:[0,1]
	v_mov_b32_e32 v40, v42
	v_mov_b32_e32 v41, v31
	;; [unrolled: 1-line block ×4, first 2 shown]
	ds_write_b64 v245, v[72:73] offset:2592
	ds_write2_b64 v246, v[2:3], v[40:41] offset1:54
	v_pk_add_f32 v[2:3], v[28:29], v[24:25] neg_lo:[0,1] neg_hi:[0,1]
	v_pk_add_f32 v[0:1], v[12:13], v[0:1] neg_lo:[0,1] neg_hi:[0,1]
	v_mov_b32_e32 v12, v38
	v_mov_b32_e32 v13, v37
	;; [unrolled: 1-line block ×6, first 2 shown]
	v_pk_fma_f32 v[12:13], v[0:1], s[18:19], v[12:13] op_sel_hi:[1,0,1] neg_lo:[1,0,1] neg_hi:[1,0,1]
	v_pk_fma_f32 v[22:23], v[2:3], s[16:17], v[22:23] op_sel_hi:[1,0,1] neg_lo:[1,0,1] neg_hi:[1,0,1]
	;; [unrolled: 1-line block ×4, first 2 shown]
	v_pk_add_f32 v[12:13], v[12:13], v[34:35]
	v_pk_fma_f32 v[22:23], v[14:15], s[0:1], v[22:23] op_sel_hi:[1,0,1]
	v_pk_add_f32 v[0:1], v[0:1], v[34:35]
	v_pk_fma_f32 v[2:3], v[14:15], s[0:1], v[2:3] op_sel_hi:[1,0,1]
	v_pk_add_f32 v[24:25], v[12:13], v[22:23]
	v_pk_add_f32 v[12:13], v[12:13], v[22:23] neg_lo:[0,1] neg_hi:[0,1]
	v_pk_add_f32 v[14:15], v[0:1], v[2:3] neg_lo:[0,1] neg_hi:[0,1]
	v_pk_add_f32 v[0:1], v[0:1], v[2:3]
	v_mov_b32_e32 v22, v24
	v_mov_b32_e32 v23, v13
	v_mov_b32_e32 v2, v14
	v_mov_b32_e32 v3, v1
	v_mov_b32_e32 v56, v84
	v_mov_b32_e32 v57, v84
	v_mov_b32_e32 v84, v85
	v_mov_b32_e32 v54, v86
	v_mov_b32_e32 v55, v86
	v_mov_b32_e32 v86, v87
	v_mov_b32_e32 v50, v80
	v_mov_b32_e32 v51, v80
	v_mov_b32_e32 v80, v81
	v_mov_b32_e32 v48, v82
	v_mov_b32_e32 v49, v82
	v_mov_b32_e32 v82, v83
	v_mov_b32_e32 v112, v100
	v_mov_b32_e32 v113, v100
	v_mov_b32_e32 v100, v101
	v_mov_b32_e32 v110, v102
	v_mov_b32_e32 v111, v102
	v_mov_b32_e32 v102, v103
	v_mov_b32_e32 v108, v96
	v_mov_b32_e32 v109, v96
	v_mov_b32_e32 v96, v97
	v_mov_b32_e32 v106, v98
	v_mov_b32_e32 v107, v98
	v_mov_b32_e32 v98, v99
	v_mov_b32_e32 v104, v92
	v_mov_b32_e32 v105, v92
	v_mov_b32_e32 v92, v93
	v_mov_b32_e32 v66, v94
	v_mov_b32_e32 v67, v94
	v_mov_b32_e32 v94, v95
	v_mov_b32_e32 v64, v88
	v_mov_b32_e32 v65, v88
	v_mov_b32_e32 v88, v89
	v_mov_b32_e32 v58, v90
	v_mov_b32_e32 v59, v90
	v_mov_b32_e32 v90, v91
	ds_write2_b64 v246, v[22:23], v[2:3] offset0:108 offset1:162
	v_mov_b32_e32 v1, v15
	v_mov_b32_e32 v13, v25
	v_add_u32_e32 v2, 0x400, v246
	v_mov_b32_e32 v31, v43
	ds_write2_b64 v2, v[0:1], v[12:13] offset0:88 offset1:142
	ds_write_b64 v246, v[30:31] offset:2592
	s_and_saveexec_b64 s[24:25], s[2:3]
	s_cbranch_execz .LBB0_23
; %bb.22:
	v_mov_b32_e32 v26, v7
	v_mov_b32_e32 v27, v11
	;; [unrolled: 1-line block ×4, first 2 shown]
	v_pk_mul_f32 v[26:27], v[26:27], v[28:29]
	v_mov_b32_e32 v29, v16
	v_mov_b32_e32 v34, v5
	;; [unrolled: 1-line block ×5, first 2 shown]
	v_pk_mul_f32 v[16:17], v[16:17], v[170:171]
	v_mov_b32_e32 v21, v10
	v_pk_mul_f32 v[34:35], v[34:35], v[36:37]
	v_pk_mul_f32 v[10:11], v[10:11], v[172:173]
	v_mov_b32_e32 v36, v16
	v_mov_b32_e32 v16, v19
	;; [unrolled: 1-line block ×8, first 2 shown]
	v_pk_mul_f32 v[16:17], v[16:17], v[168:169]
	v_mov_b32_e32 v0, v8
	v_mov_b32_e32 v1, v6
	v_pk_mul_f32 v[2:3], v[2:3], v[116:117]
	v_mov_b32_e32 v12, v18
	v_mov_b32_e32 v13, v4
	;; [unrolled: 3-line block ×3, first 2 shown]
	v_mov_b32_e32 v24, v117
	v_mov_b32_e32 v25, v173
	;; [unrolled: 1-line block ×6, first 2 shown]
	v_pk_fma_f32 v[16:17], v[18:19], v[174:175], v[16:17] neg_lo:[0,0,1] neg_hi:[0,0,1]
	v_mov_b32_e32 v18, v9
	v_pk_add_f32 v[10:11], v[36:37], v[10:11]
	v_pk_mul_f32 v[18:19], v[18:19], v[114:115]
	v_pk_fma_f32 v[38:39], v[12:13], v[168:169], v[14:15]
	v_pk_fma_f32 v[12:13], v[12:13], v[168:169], v[14:15] neg_lo:[0,0,1] neg_hi:[0,0,1]
	v_pk_fma_f32 v[14:15], v[0:1], v[114:115], v[2:3]
	v_pk_fma_f32 v[0:1], v[0:1], v[114:115], v[2:3] neg_lo:[0,0,1] neg_hi:[0,0,1]
	;; [unrolled: 2-line block ×4, first 2 shown]
	v_pk_fma_f32 v[8:9], v[8:9], v[116:117], v[18:19] neg_lo:[0,0,1] neg_hi:[0,0,1]
	v_mov_b32_e32 v36, v11
	v_mov_b32_e32 v39, v13
	;; [unrolled: 1-line block ×5, first 2 shown]
	v_pk_add_f32 v[18:19], v[16:17], v[8:9]
	v_pk_add_f32 v[36:37], v[10:11], v[36:37]
	;; [unrolled: 1-line block ×4, first 2 shown]
	v_mov_b32_e32 v31, v18
	v_mov_b32_e32 v30, v24
	;; [unrolled: 1-line block ×13, first 2 shown]
	v_pk_add_f32 v[30:31], v[30:31], v[36:37] neg_lo:[0,1] neg_hi:[0,1]
	v_mov_b32_e32 v37, v25
	v_mov_b32_e32 v32, v22
	;; [unrolled: 1-line block ×3, first 2 shown]
	v_pk_add_f32 v[8:9], v[8:9], v[16:17] neg_lo:[0,1] neg_hi:[0,1]
	v_pk_add_f32 v[0:1], v[0:1], v[6:7] neg_lo:[0,1] neg_hi:[0,1]
	v_pk_add_f32 v[2:3], v[2:3], v[4:5] neg_lo:[0,1] neg_hi:[0,1]
	v_pk_add_f32 v[26:27], v[22:23], v[24:25] neg_lo:[0,1] neg_hi:[0,1]
	v_pk_add_f32 v[18:19], v[36:37], v[32:33]
	v_mov_b32_e32 v25, v23
	v_mov_b32_e32 v10, v0
	;; [unrolled: 1-line block ×5, first 2 shown]
	v_pk_add_f32 v[18:19], v[24:25], v[18:19]
	v_mov_b32_e32 v4, v8
	v_mov_b32_e32 v5, v1
	;; [unrolled: 1-line block ×4, first 2 shown]
	v_pk_add_f32 v[10:11], v[10:11], v[12:13] neg_lo:[0,1] neg_hi:[0,1]
	v_pk_mul_f32 v[30:31], v[30:31], s[20:21]
	v_pk_add_f32 v[22:23], v[52:53], v[18:19]
	s_mov_b32 s2, 0xbf955555
	v_pk_add_f32 v[4:5], v[4:5], v[6:7] neg_lo:[0,1] neg_hi:[0,1]
	v_pk_mul_f32 v[10:11], v[10:11], s[4:5]
	v_pk_add_f32 v[0:1], v[0:1], v[2:3]
	v_pk_mul_f32 v[28:29], v[26:27], s[22:23]
	v_pk_fma_f32 v[26:27], v[26:27], s[22:23], v[30:31]
	v_pk_fma_f32 v[18:19], v[18:19], s[2:3], v[22:23] op_sel_hi:[1,0,1]
	v_pk_mul_f32 v[6:7], v[4:5], s[14:15]
	v_pk_fma_f32 v[4:5], v[4:5], s[14:15], v[10:11]
	v_pk_add_f32 v[0:1], v[0:1], v[8:9]
	v_pk_add_f32 v[24:25], v[26:27], v[18:19]
	v_pk_fma_f32 v[4:5], v[0:1], s[0:1], v[4:5] op_sel_hi:[1,0,1]
	v_pk_add_f32 v[2:3], v[2:3], v[8:9] neg_lo:[0,1] neg_hi:[0,1]
	v_pk_add_f32 v[12:13], v[24:25], v[4:5] neg_lo:[0,1] neg_hi:[0,1]
	v_pk_add_f32 v[4:5], v[24:25], v[4:5]
	v_accvgpr_read_b32 v24, a0
	v_mov_b32_e32 v14, v4
	v_mov_b32_e32 v15, v13
	v_add_u32_e32 v4, 0x2c00, v24
	v_mov_b32_e32 v8, v6
	v_mov_b32_e32 v9, v11
	;; [unrolled: 1-line block ×3, first 2 shown]
	ds_write2_b64 v4, v[22:23], v[14:15] offset0:104 offset1:158
	v_mov_b32_e32 v14, v28
	v_mov_b32_e32 v15, v31
	v_pk_add_f32 v[16:17], v[36:37], v[32:33] neg_lo:[0,1] neg_hi:[0,1]
	v_pk_fma_f32 v[8:9], v[2:3], s[16:17], v[8:9] op_sel_hi:[1,0,1] neg_lo:[1,0,1] neg_hi:[1,0,1]
	v_pk_fma_f32 v[2:3], v[2:3], s[16:17], v[10:11] op_sel_hi:[1,0,1] neg_lo:[0,0,1] neg_hi:[0,0,1]
	v_mov_b32_e32 v31, v29
	v_pk_fma_f32 v[14:15], v[16:17], s[18:19], v[14:15] op_sel_hi:[1,0,1] neg_lo:[1,0,1] neg_hi:[1,0,1]
	v_pk_fma_f32 v[8:9], v[0:1], s[0:1], v[8:9] op_sel_hi:[1,0,1]
	v_pk_fma_f32 v[0:1], v[0:1], s[0:1], v[2:3] op_sel_hi:[1,0,1]
	v_pk_fma_f32 v[2:3], v[16:17], s[18:19], v[30:31] op_sel_hi:[1,0,1] neg_lo:[0,0,1] neg_hi:[0,0,1]
	v_pk_add_f32 v[14:15], v[14:15], v[18:19]
	v_pk_add_f32 v[2:3], v[2:3], v[18:19]
	v_pk_add_f32 v[20:21], v[14:15], v[8:9] neg_lo:[0,1] neg_hi:[0,1]
	v_pk_add_f32 v[8:9], v[14:15], v[8:9]
	v_pk_add_f32 v[6:7], v[2:3], v[0:1]
	v_pk_add_f32 v[0:1], v[2:3], v[0:1] neg_lo:[0,1] neg_hi:[0,1]
	v_mov_b32_e32 v14, v8
	v_mov_b32_e32 v15, v21
	v_mov_b32_e32 v2, v0
	v_mov_b32_e32 v3, v7
	v_add_u32_e32 v0, 0x3000, v24
	v_mov_b32_e32 v7, v1
	v_mov_b32_e32 v21, v9
	;; [unrolled: 1-line block ×3, first 2 shown]
	ds_write2_b64 v0, v[14:15], v[2:3] offset0:84 offset1:138
	ds_write2_b64 v0, v[6:7], v[20:21] offset0:192 offset1:246
	ds_write_b64 v24, v[12:13] offset:14688
.LBB0_23:
	s_or_b64 exec, exec, s[24:25]
	v_add_u32_e32 v60, 0x400, v132
	s_waitcnt lgkmcnt(0)
	s_barrier
	ds_read2_b64 v[8:11], v60 offset0:124 offset1:250
	v_add_u32_e32 v12, 0x1400, v132
	ds_read2_b64 v[12:15], v12 offset0:116 offset1:242
	v_add_u32_e32 v16, 0x1c00, v132
	ds_read2_b64 v[16:19], v16 offset0:112 offset1:238
	v_add_u32_e32 v20, 0x2c00, v132
	s_waitcnt lgkmcnt(2)
	v_pk_mul_f32 v[24:25], v[100:101], v[10:11]
	ds_read2_b64 v[20:23], v20 offset0:104 offset1:230
	v_pk_fma_f32 v[26:27], v[112:113], v[10:11], v[24:25] op_sel:[0,0,1] op_sel_hi:[1,1,0]
	v_pk_fma_f32 v[10:11], v[112:113], v[10:11], v[24:25] op_sel:[0,0,1] op_sel_hi:[1,1,0] neg_lo:[0,0,1] neg_hi:[0,0,1]
	ds_read2_b64 v[4:7], v132 offset1:126
	v_mov_b32_e32 v27, v11
	s_waitcnt lgkmcnt(3)
	v_pk_mul_f32 v[10:11], v[102:103], v[12:13]
	v_add_u32_e32 v61, 0xc00, v132
	v_pk_fma_f32 v[24:25], v[110:111], v[12:13], v[10:11] op_sel:[0,0,1] op_sel_hi:[1,1,0]
	v_pk_fma_f32 v[10:11], v[110:111], v[12:13], v[10:11] op_sel:[0,0,1] op_sel_hi:[1,1,0] neg_lo:[0,0,1] neg_hi:[0,0,1]
	s_mov_b32 s2, 0x3f737871
	v_mov_b32_e32 v25, v11
	s_waitcnt lgkmcnt(2)
	v_pk_mul_f32 v[10:11], v[96:97], v[18:19]
	s_mov_b32 s4, 0x3f167918
	v_pk_fma_f32 v[28:29], v[108:109], v[18:19], v[10:11] op_sel:[0,0,1] op_sel_hi:[1,1,0]
	v_pk_fma_f32 v[10:11], v[108:109], v[18:19], v[10:11] op_sel:[0,0,1] op_sel_hi:[1,1,0] neg_lo:[0,0,1] neg_hi:[0,0,1]
	v_mad_u64_u32 v[2:3], s[0:1], s10, v158, 0
	v_mov_b32_e32 v29, v11
	s_waitcnt lgkmcnt(1)
	v_pk_mul_f32 v[10:11], v[98:99], v[20:21]
	v_pk_add_f32 v[46:47], v[24:25], v[28:29] neg_lo:[0,1] neg_hi:[0,1]
	v_pk_fma_f32 v[30:31], v[106:107], v[20:21], v[10:11] op_sel:[0,0,1] op_sel_hi:[1,1,0]
	v_pk_fma_f32 v[10:11], v[106:107], v[20:21], v[10:11] op_sel:[0,0,1] op_sel_hi:[1,1,0] neg_lo:[0,0,1] neg_hi:[0,0,1]
	s_mov_b32 s0, 0x3e9e377a
	v_mov_b32_e32 v31, v11
	s_waitcnt lgkmcnt(0)
	v_pk_add_f32 v[10:11], v[4:5], v[26:27]
	v_pk_add_f32 v[42:43], v[26:27], v[30:31] neg_lo:[0,1] neg_hi:[0,1]
	v_pk_add_f32 v[18:19], v[10:11], v[24:25]
	ds_read2_b64 v[10:13], v61 offset0:120 offset1:246
	v_pk_add_f32 v[18:19], v[18:19], v[28:29]
	v_pk_mul_f32 v[44:45], v[42:43], s[2:3] op_sel_hi:[1,0]
	v_pk_add_f32 v[32:33], v[18:19], v[30:31]
	v_add_u32_e32 v18, 0x2400, v132
	ds_read2_b64 v[18:21], v18 offset0:108 offset1:234
	s_waitcnt lgkmcnt(1)
	v_pk_mul_f32 v[34:35], v[92:93], v[10:11]
	v_pk_mul_f32 v[38:39], v[84:85], v[12:13]
	v_pk_fma_f32 v[36:37], v[104:105], v[10:11], v[34:35] op_sel:[0,0,1] op_sel_hi:[1,1,0]
	v_pk_fma_f32 v[10:11], v[104:105], v[10:11], v[34:35] op_sel:[0,0,1] op_sel_hi:[1,1,0] neg_lo:[0,0,1] neg_hi:[0,0,1]
	v_pk_fma_f32 v[40:41], v[56:57], v[12:13], v[38:39] op_sel:[0,0,1] op_sel_hi:[1,1,0]
	v_mov_b32_e32 v37, v11
	v_pk_mul_f32 v[10:11], v[94:95], v[14:15]
	v_pk_fma_f32 v[12:13], v[56:57], v[12:13], v[38:39] op_sel:[0,0,1] op_sel_hi:[1,1,0] neg_lo:[0,0,1] neg_hi:[0,0,1]
	v_pk_fma_f32 v[34:35], v[66:67], v[14:15], v[10:11] op_sel:[0,0,1] op_sel_hi:[1,1,0]
	v_pk_fma_f32 v[10:11], v[66:67], v[14:15], v[10:11] op_sel:[0,0,1] op_sel_hi:[1,1,0] neg_lo:[0,0,1] neg_hi:[0,0,1]
	v_mov_b32_e32 v41, v13
	v_mov_b32_e32 v35, v11
	s_waitcnt lgkmcnt(0)
	v_pk_mul_f32 v[10:11], v[88:89], v[18:19]
	v_pk_mul_f32 v[12:13], v[86:87], v[16:17]
	v_pk_fma_f32 v[14:15], v[64:65], v[18:19], v[10:11] op_sel:[0,0,1] op_sel_hi:[1,1,0]
	v_pk_fma_f32 v[10:11], v[64:65], v[18:19], v[10:11] op_sel:[0,0,1] op_sel_hi:[1,1,0] neg_lo:[0,0,1] neg_hi:[0,0,1]
	v_pk_fma_f32 v[38:39], v[54:55], v[16:17], v[12:13] op_sel:[0,0,1] op_sel_hi:[1,1,0]
	v_mov_b32_e32 v15, v11
	v_pk_mul_f32 v[10:11], v[90:91], v[22:23]
	v_pk_fma_f32 v[12:13], v[54:55], v[16:17], v[12:13] op_sel:[0,0,1] op_sel_hi:[1,1,0] neg_lo:[0,0,1] neg_hi:[0,0,1]
	v_pk_fma_f32 v[18:19], v[58:59], v[22:23], v[10:11] op_sel:[0,0,1] op_sel_hi:[1,1,0]
	v_pk_fma_f32 v[10:11], v[58:59], v[22:23], v[10:11] op_sel:[0,0,1] op_sel_hi:[1,1,0] neg_lo:[0,0,1] neg_hi:[0,0,1]
	ds_read_b64 v[22:23], v132 offset:14112
	v_mov_b32_e32 v39, v13
	v_pk_mul_f32 v[12:13], v[80:81], v[20:21]
	v_pk_add_f32 v[52:53], v[30:31], v[28:29] neg_lo:[0,1] neg_hi:[0,1]
	v_pk_fma_f32 v[16:17], v[50:51], v[20:21], v[12:13] op_sel:[0,0,1] op_sel_hi:[1,1,0]
	v_pk_fma_f32 v[12:13], v[50:51], v[20:21], v[12:13] op_sel:[0,0,1] op_sel_hi:[1,1,0] neg_lo:[0,0,1] neg_hi:[0,0,1]
	v_pk_add_f32 v[50:51], v[26:27], v[24:25] neg_lo:[0,1] neg_hi:[0,1]
	v_mov_b32_e32 v17, v13
	s_waitcnt lgkmcnt(0)
	v_pk_mul_f32 v[12:13], v[82:83], v[22:23]
	v_pk_add_f32 v[50:51], v[50:51], v[52:53]
	v_pk_fma_f32 v[20:21], v[48:49], v[22:23], v[12:13] op_sel:[0,0,1] op_sel_hi:[1,1,0]
	v_pk_fma_f32 v[12:13], v[48:49], v[22:23], v[12:13] op_sel:[0,0,1] op_sel_hi:[1,1,0] neg_lo:[0,0,1] neg_hi:[0,0,1]
	v_pk_add_f32 v[22:23], v[24:25], v[28:29]
	v_pk_mul_f32 v[48:49], v[46:47], s[4:5] op_sel_hi:[1,0]
	v_pk_fma_f32 v[22:23], v[22:23], 0.5, v[4:5] op_sel_hi:[1,0,1] neg_lo:[1,0,0] neg_hi:[1,0,0]
	v_mov_b32_e32 v19, v11
	v_pk_add_f32 v[52:53], v[22:23], v[44:45] op_sel:[0,1] op_sel_hi:[1,0] neg_lo:[0,1] neg_hi:[0,1]
	v_pk_add_f32 v[22:23], v[22:23], v[44:45] op_sel:[0,1] op_sel_hi:[1,0]
	v_pk_add_f32 v[44:45], v[52:53], v[48:49] op_sel:[0,1] op_sel_hi:[1,0] neg_lo:[0,1] neg_hi:[0,1]
	v_pk_add_f32 v[22:23], v[22:23], v[48:49] op_sel:[0,1] op_sel_hi:[1,0]
	v_mov_b32_e32 v48, v44
	v_mov_b32_e32 v49, v23
	;; [unrolled: 1-line block ×3, first 2 shown]
	v_pk_fma_f32 v[22:23], v[50:51], s[0:1], v[22:23] op_sel_hi:[1,0,1]
	v_pk_fma_f32 v[48:49], v[50:51], s[0:1], v[48:49] op_sel_hi:[1,0,1]
	ds_write_b64 v132, v[22:23] offset:12096
	ds_write_b64 v132, v[48:49] offset:3024
	v_pk_add_f32 v[22:23], v[26:27], v[30:31]
	v_pk_add_f32 v[10:11], v[6:7], v[36:37]
	v_pk_fma_f32 v[4:5], v[22:23], 0.5, v[4:5] op_sel_hi:[1,0,1] neg_lo:[1,0,0] neg_hi:[1,0,0]
	v_pk_add_f32 v[22:23], v[24:25], v[26:27] neg_lo:[0,1] neg_hi:[0,1]
	v_pk_add_f32 v[24:25], v[28:29], v[30:31] neg_lo:[0,1] neg_hi:[0,1]
	v_pk_mul_f32 v[26:27], v[42:43], s[4:5] op_sel_hi:[1,0]
	v_pk_add_f32 v[22:23], v[22:23], v[24:25]
	v_pk_mul_f32 v[24:25], v[46:47], s[2:3] op_sel_hi:[1,0]
	v_pk_add_f32 v[10:11], v[10:11], v[34:35]
	v_pk_add_f32 v[28:29], v[4:5], v[24:25] op_sel:[0,1] op_sel_hi:[1,0]
	v_pk_add_f32 v[4:5], v[4:5], v[24:25] op_sel:[0,1] op_sel_hi:[1,0] neg_lo:[0,1] neg_hi:[0,1]
	v_pk_add_f32 v[24:25], v[28:29], v[26:27] op_sel:[0,1] op_sel_hi:[1,0] neg_lo:[0,1] neg_hi:[0,1]
	v_pk_add_f32 v[4:5], v[4:5], v[26:27] op_sel:[0,1] op_sel_hi:[1,0]
	v_pk_add_f32 v[10:11], v[10:11], v[14:15]
	v_mov_b32_e32 v27, v5
	v_mov_b32_e32 v5, v25
	v_pk_add_f32 v[10:11], v[10:11], v[18:19]
	v_mov_b32_e32 v26, v24
	v_pk_fma_f32 v[4:5], v[22:23], s[0:1], v[4:5] op_sel_hi:[1,0,1]
	v_pk_fma_f32 v[26:27], v[22:23], s[0:1], v[26:27] op_sel_hi:[1,0,1]
	ds_write_b64 v132, v[4:5] offset:9072
	ds_write_b64 v132, v[26:27] offset:6048
	ds_write2_b64 v132, v[32:33], v[10:11] offset1:126
	v_pk_add_f32 v[4:5], v[34:35], v[14:15]
	v_pk_add_f32 v[10:11], v[36:37], v[18:19] neg_lo:[0,1] neg_hi:[0,1]
	v_pk_fma_f32 v[4:5], v[4:5], 0.5, v[6:7] op_sel_hi:[1,0,1] neg_lo:[1,0,0] neg_hi:[1,0,0]
	v_pk_mul_f32 v[22:23], v[10:11], s[2:3] op_sel_hi:[1,0]
	v_pk_add_f32 v[24:25], v[34:35], v[14:15] neg_lo:[0,1] neg_hi:[0,1]
	v_pk_add_f32 v[28:29], v[36:37], v[34:35] neg_lo:[0,1] neg_hi:[0,1]
	v_pk_add_f32 v[30:31], v[18:19], v[14:15] neg_lo:[0,1] neg_hi:[0,1]
	v_pk_mul_f32 v[26:27], v[24:25], s[4:5] op_sel_hi:[1,0]
	v_pk_add_f32 v[28:29], v[28:29], v[30:31]
	v_pk_add_f32 v[30:31], v[4:5], v[22:23] op_sel:[0,1] op_sel_hi:[1,0] neg_lo:[0,1] neg_hi:[0,1]
	v_pk_add_f32 v[4:5], v[4:5], v[22:23] op_sel:[0,1] op_sel_hi:[1,0]
	v_pk_add_f32 v[22:23], v[30:31], v[26:27] op_sel:[0,1] op_sel_hi:[1,0] neg_lo:[0,1] neg_hi:[0,1]
	v_pk_add_f32 v[4:5], v[4:5], v[26:27] op_sel:[0,1] op_sel_hi:[1,0]
	v_pk_add_f32 v[14:15], v[14:15], v[18:19] neg_lo:[0,1] neg_hi:[0,1]
	v_mov_b32_e32 v27, v5
	v_mov_b32_e32 v5, v23
	v_pk_fma_f32 v[4:5], v[28:29], s[0:1], v[4:5] op_sel_hi:[1,0,1]
	ds_write_b64 v132, v[4:5] offset:13104
	v_pk_add_f32 v[4:5], v[36:37], v[18:19]
	v_pk_mul_f32 v[10:11], v[10:11], s[4:5] op_sel_hi:[1,0]
	v_pk_fma_f32 v[4:5], v[4:5], 0.5, v[6:7] op_sel_hi:[1,0,1] neg_lo:[1,0,0] neg_hi:[1,0,0]
	v_pk_add_f32 v[6:7], v[34:35], v[36:37] neg_lo:[0,1] neg_hi:[0,1]
	v_mov_b32_e32 v21, v13
	v_pk_add_f32 v[6:7], v[6:7], v[14:15]
	v_pk_mul_f32 v[14:15], v[24:25], s[2:3] op_sel_hi:[1,0]
	v_pk_add_f32 v[12:13], v[8:9], v[40:41]
	v_pk_add_f32 v[18:19], v[4:5], v[14:15] op_sel:[0,1] op_sel_hi:[1,0]
	v_pk_add_f32 v[4:5], v[4:5], v[14:15] op_sel:[0,1] op_sel_hi:[1,0] neg_lo:[0,1] neg_hi:[0,1]
	v_pk_add_f32 v[12:13], v[12:13], v[38:39]
	v_pk_add_f32 v[4:5], v[4:5], v[10:11] op_sel:[0,1] op_sel_hi:[1,0]
	v_pk_add_f32 v[10:11], v[18:19], v[10:11] op_sel:[0,1] op_sel_hi:[1,0] neg_lo:[0,1] neg_hi:[0,1]
	v_mov_b32_e32 v15, v5
	v_mov_b32_e32 v5, v11
	v_pk_add_f32 v[12:13], v[12:13], v[16:17]
	v_mov_b32_e32 v14, v10
	v_pk_fma_f32 v[4:5], v[6:7], s[0:1], v[4:5] op_sel_hi:[1,0,1]
	v_pk_add_f32 v[12:13], v[12:13], v[20:21]
	v_pk_fma_f32 v[14:15], v[6:7], s[0:1], v[14:15] op_sel_hi:[1,0,1]
	ds_write_b64 v132, v[4:5] offset:10080
	ds_write_b64 v132, v[14:15] offset:7056
	;; [unrolled: 1-line block ×3, first 2 shown]
	v_pk_add_f32 v[4:5], v[38:39], v[16:17]
	v_pk_add_f32 v[6:7], v[40:41], v[20:21] neg_lo:[0,1] neg_hi:[0,1]
	v_mov_b32_e32 v26, v22
	v_pk_fma_f32 v[4:5], v[4:5], 0.5, v[8:9] op_sel_hi:[1,0,1] neg_lo:[1,0,0] neg_hi:[1,0,0]
	v_pk_mul_f32 v[10:11], v[6:7], s[2:3] op_sel_hi:[1,0]
	v_pk_add_f32 v[12:13], v[38:39], v[16:17] neg_lo:[0,1] neg_hi:[0,1]
	v_pk_add_f32 v[18:19], v[40:41], v[38:39] neg_lo:[0,1] neg_hi:[0,1]
	;; [unrolled: 1-line block ×3, first 2 shown]
	v_pk_mul_f32 v[14:15], v[12:13], s[4:5] op_sel_hi:[1,0]
	v_pk_add_f32 v[18:19], v[18:19], v[22:23]
	v_pk_add_f32 v[22:23], v[4:5], v[10:11] op_sel:[0,1] op_sel_hi:[1,0] neg_lo:[0,1] neg_hi:[0,1]
	v_pk_add_f32 v[4:5], v[4:5], v[10:11] op_sel:[0,1] op_sel_hi:[1,0]
	v_pk_add_f32 v[10:11], v[22:23], v[14:15] op_sel:[0,1] op_sel_hi:[1,0] neg_lo:[0,1] neg_hi:[0,1]
	v_pk_add_f32 v[4:5], v[4:5], v[14:15] op_sel:[0,1] op_sel_hi:[1,0]
	v_mov_b32_e32 v14, v10
	v_mov_b32_e32 v15, v5
	v_pk_fma_f32 v[26:27], v[28:29], s[0:1], v[26:27] op_sel_hi:[1,0,1]
	v_pk_fma_f32 v[14:15], v[18:19], s[0:1], v[14:15] op_sel_hi:[1,0,1]
	ds_write2_b64 v61, v[26:27], v[14:15] offset0:120 offset1:246
	v_pk_add_f32 v[14:15], v[40:41], v[20:21]
	v_pk_add_f32 v[16:17], v[16:17], v[20:21] neg_lo:[0,1] neg_hi:[0,1]
	v_pk_fma_f32 v[8:9], v[14:15], 0.5, v[8:9] op_sel_hi:[1,0,1] neg_lo:[1,0,0] neg_hi:[1,0,0]
	v_pk_add_f32 v[14:15], v[38:39], v[40:41] neg_lo:[0,1] neg_hi:[0,1]
	v_pk_mul_f32 v[12:13], v[12:13], s[2:3] op_sel_hi:[1,0]
	v_pk_add_f32 v[14:15], v[14:15], v[16:17]
	v_pk_mul_f32 v[6:7], v[6:7], s[4:5] op_sel_hi:[1,0]
	v_pk_add_f32 v[16:17], v[8:9], v[12:13] op_sel:[0,1] op_sel_hi:[1,0]
	v_pk_add_f32 v[8:9], v[8:9], v[12:13] op_sel:[0,1] op_sel_hi:[1,0] neg_lo:[0,1] neg_hi:[0,1]
	v_mov_b32_e32 v5, v11
	v_pk_add_f32 v[8:9], v[8:9], v[6:7] op_sel:[0,1] op_sel_hi:[1,0]
	v_pk_add_f32 v[6:7], v[16:17], v[6:7] op_sel:[0,1] op_sel_hi:[1,0] neg_lo:[0,1] neg_hi:[0,1]
	v_mov_b32_e32 v13, v9
	v_mov_b32_e32 v12, v6
	;; [unrolled: 1-line block ×3, first 2 shown]
	v_pk_fma_f32 v[12:13], v[14:15], s[0:1], v[12:13] op_sel_hi:[1,0,1]
	v_pk_fma_f32 v[6:7], v[14:15], s[0:1], v[8:9] op_sel_hi:[1,0,1]
	;; [unrolled: 1-line block ×3, first 2 shown]
	ds_write_b64 v132, v[12:13] offset:8064
	ds_write_b64 v132, v[6:7] offset:11088
	;; [unrolled: 1-line block ×3, first 2 shown]
	s_waitcnt lgkmcnt(0)
	s_barrier
	ds_read2_b64 v[4:7], v132 offset1:126
	v_mov_b32_e32 v8, v3
	v_mad_u64_u32 v[8:9], s[0:1], s11, v158, v[8:9]
	v_mov_b32_e32 v3, v8
	s_waitcnt lgkmcnt(0)
	v_mul_f32_e32 v8, v167, v5
	v_fmac_f32_e32 v8, v166, v4
	v_mul_f32_e32 v4, v167, v4
	s_mov_b32 s0, 0xbc011567
	v_fma_f32 v4, v166, v5, -v4
	s_mov_b32 s1, 0x3f41566a
	v_cvt_f64_f32_e32 v[4:5], v4
	v_cvt_f64_f32_e32 v[8:9], v8
	v_mul_f64 v[4:5], v[4:5], s[0:1]
	v_mul_f64 v[8:9], v[8:9], s[0:1]
	v_cvt_f32_f64_e32 v13, v[4:5]
	v_mad_u64_u32 v[4:5], s[2:3], s8, v148, 0
	v_cvt_f32_f64_e32 v12, v[8:9]
	v_mov_b32_e32 v8, v5
	v_add_u32_e32 v5, 0x1600, v132
	v_mad_u64_u32 v[14:15], s[2:3], s9, v148, v[8:9]
	ds_read2_b64 v[8:11], v5 offset0:52 offset1:241
	v_mov_b32_e32 v0, s12
	v_mov_b32_e32 v1, s13
	v_lshl_add_u64 v[0:1], v[2:3], 3, v[0:1]
	v_mov_b32_e32 v5, v14
	s_waitcnt lgkmcnt(0)
	v_mul_f32_e32 v2, v165, v11
	v_fmac_f32_e32 v2, v164, v10
	v_cvt_f64_f32_e32 v[2:3], v2
	v_mul_f64 v[2:3], v[2:3], s[0:1]
	v_cvt_f32_f64_e32 v2, v[2:3]
	v_mul_f32_e32 v3, v165, v10
	v_fma_f32 v3, v164, v11, -v3
	s_mul_i32 s2, s9, 0x3b1
	s_mul_hi_u32 s3, s8, 0x3b1
	v_lshl_add_u64 v[0:1], v[4:5], 3, v[0:1]
	v_cvt_f64_f32_e32 v[4:5], v3
	s_add_i32 s3, s3, s2
	s_mul_i32 s2, s8, 0x3b1
	v_mul_f64 v[4:5], v[4:5], s[0:1]
	s_lshl_b64 s[10:11], s[2:3], 3
	global_store_dwordx2 v[0:1], v[12:13], off
	v_cvt_f32_f64_e32 v3, v[4:5]
	v_lshl_add_u64 v[4:5], v[0:1], 0, s[10:11]
	v_mul_f32_e32 v0, v163, v7
	v_fmac_f32_e32 v0, v162, v6
	v_cvt_f64_f32_e32 v[0:1], v0
	v_mul_f64 v[0:1], v[0:1], s[0:1]
	v_cvt_f32_f64_e32 v10, v[0:1]
	v_mul_f32_e32 v0, v163, v6
	v_fma_f32 v0, v162, v7, -v0
	v_cvt_f64_f32_e32 v[0:1], v0
	v_mul_f64 v[0:1], v[0:1], s[0:1]
	v_cvt_f32_f64_e32 v11, v[0:1]
	v_add_u32_e32 v0, 0x2000, v132
	global_store_dwordx2 v[4:5], v[2:3], off
	ds_read2_b64 v[0:3], v0 offset0:47 offset1:173
	s_mul_hi_u32 s5, s8, 0xfffffccd
	s_mul_i32 s4, s9, 0xfffffccd
	s_sub_i32 s5, s5, s8
	s_add_i32 s5, s5, s4
	s_mul_i32 s4, s8, 0xfffffccd
	s_lshl_b64 s[8:9], s[4:5], 3
	v_lshl_add_u64 v[12:13], v[4:5], 0, s[8:9]
	s_waitcnt lgkmcnt(0)
	v_mul_f32_e32 v4, v161, v1
	v_fmac_f32_e32 v4, v160, v0
	v_cvt_f64_f32_e32 v[4:5], v4
	v_mul_f64 v[4:5], v[4:5], s[0:1]
	global_store_dwordx2 v[12:13], v[10:11], off
	v_cvt_f32_f64_e32 v10, v[4:5]
	v_mul_f32_e32 v0, v161, v0
	ds_read2_b64 v[4:7], v60 offset0:124 offset1:250
	v_fma_f32 v0, v160, v1, -v0
	v_cvt_f64_f32_e32 v[0:1], v0
	v_mul_f64 v[0:1], v[0:1], s[0:1]
	v_cvt_f32_f64_e32 v11, v[0:1]
	v_lshl_add_u64 v[0:1], v[12:13], 0, s[10:11]
	global_store_dwordx2 v[0:1], v[10:11], off
	s_waitcnt lgkmcnt(0)
	v_mul_f32_e32 v10, v157, v5
	v_fmac_f32_e32 v10, v156, v4
	v_mul_f32_e32 v4, v157, v4
	v_fma_f32 v4, v156, v5, -v4
	v_cvt_f64_f32_e32 v[10:11], v10
	v_cvt_f64_f32_e32 v[4:5], v4
	v_mul_f64 v[10:11], v[10:11], s[0:1]
	v_mul_f64 v[4:5], v[4:5], s[0:1]
	v_cvt_f32_f64_e32 v10, v[10:11]
	v_cvt_f32_f64_e32 v11, v[4:5]
	v_mul_f32_e32 v4, v155, v3
	v_lshl_add_u64 v[0:1], v[0:1], 0, s[8:9]
	v_fmac_f32_e32 v4, v154, v2
	v_mul_f32_e32 v2, v155, v2
	global_store_dwordx2 v[0:1], v[10:11], off
	v_fma_f32 v2, v154, v3, -v2
	v_lshl_add_u64 v[10:11], v[0:1], 0, s[10:11]
	v_mul_f32_e32 v0, v153, v7
	v_cvt_f64_f32_e32 v[4:5], v4
	v_cvt_f64_f32_e32 v[2:3], v2
	v_fmac_f32_e32 v0, v152, v6
	v_mul_f64 v[4:5], v[4:5], s[0:1]
	v_mul_f64 v[2:3], v[2:3], s[0:1]
	v_cvt_f64_f32_e32 v[0:1], v0
	v_cvt_f32_f64_e32 v4, v[4:5]
	v_cvt_f32_f64_e32 v5, v[2:3]
	v_mul_f64 v[0:1], v[0:1], s[0:1]
	global_store_dwordx2 v[10:11], v[4:5], off
	v_cvt_f32_f64_e32 v4, v[0:1]
	v_mul_f32_e32 v0, v153, v6
	v_fma_f32 v0, v152, v7, -v0
	v_cvt_f64_f32_e32 v[6:7], v0
	v_add_u32_e32 v0, 0x2800, v132
	ds_read2_b64 v[0:3], v0 offset0:43 offset1:169
	v_mul_f64 v[6:7], v[6:7], s[0:1]
	v_cvt_f32_f64_e32 v5, v[6:7]
	v_lshl_add_u64 v[10:11], v[10:11], 0, s[8:9]
	global_store_dwordx2 v[10:11], v[4:5], off
	s_waitcnt lgkmcnt(0)
	v_mul_f32_e32 v4, v151, v1
	v_fmac_f32_e32 v4, v150, v0
	v_cvt_f64_f32_e32 v[4:5], v4
	v_mul_f64 v[4:5], v[4:5], s[0:1]
	v_cvt_f32_f64_e32 v12, v[4:5]
	ds_read2_b64 v[4:7], v61 offset0:120 offset1:246
	v_mul_f32_e32 v0, v151, v0
	v_fma_f32 v0, v150, v1, -v0
	v_cvt_f64_f32_e32 v[0:1], v0
	v_mul_f64 v[0:1], v[0:1], s[0:1]
	v_cvt_f32_f64_e32 v13, v[0:1]
	v_lshl_add_u64 v[0:1], v[10:11], 0, s[10:11]
	s_waitcnt lgkmcnt(0)
	v_mul_f32_e32 v10, v147, v5
	v_fmac_f32_e32 v10, v146, v4
	v_mul_f32_e32 v4, v147, v4
	v_fma_f32 v4, v146, v5, -v4
	v_cvt_f64_f32_e32 v[10:11], v10
	v_cvt_f64_f32_e32 v[4:5], v4
	v_mul_f64 v[10:11], v[10:11], s[0:1]
	v_mul_f64 v[4:5], v[4:5], s[0:1]
	v_cvt_f32_f64_e32 v10, v[10:11]
	v_cvt_f32_f64_e32 v11, v[4:5]
	v_mul_f32_e32 v4, v145, v3
	global_store_dwordx2 v[0:1], v[12:13], off
	v_lshl_add_u64 v[0:1], v[0:1], 0, s[8:9]
	v_fmac_f32_e32 v4, v144, v2
	v_mul_f32_e32 v2, v145, v2
	global_store_dwordx2 v[0:1], v[10:11], off
	v_fma_f32 v2, v144, v3, -v2
	v_lshl_add_u64 v[10:11], v[0:1], 0, s[10:11]
	v_mul_f32_e32 v0, v143, v7
	v_cvt_f64_f32_e32 v[4:5], v4
	v_cvt_f64_f32_e32 v[2:3], v2
	v_fmac_f32_e32 v0, v142, v6
	v_mul_f64 v[4:5], v[4:5], s[0:1]
	v_mul_f64 v[2:3], v[2:3], s[0:1]
	v_cvt_f64_f32_e32 v[0:1], v0
	v_cvt_f32_f64_e32 v4, v[4:5]
	v_cvt_f32_f64_e32 v5, v[2:3]
	v_mul_f64 v[0:1], v[0:1], s[0:1]
	global_store_dwordx2 v[10:11], v[4:5], off
	v_cvt_f32_f64_e32 v4, v[0:1]
	v_mul_f32_e32 v0, v143, v6
	v_fma_f32 v0, v142, v7, -v0
	v_cvt_f64_f32_e32 v[0:1], v0
	v_mul_f64 v[6:7], v[0:1], s[0:1]
	v_add_u32_e32 v0, 0x3000, v132
	ds_read2_b64 v[0:3], v0 offset0:39 offset1:165
	v_cvt_f32_f64_e32 v5, v[6:7]
	v_lshl_add_u64 v[6:7], v[10:11], 0, s[8:9]
	global_store_dwordx2 v[6:7], v[4:5], off
	s_movk_i32 s12, 0x3000
	s_waitcnt lgkmcnt(0)
	v_mul_f32_e32 v4, v141, v1
	v_fmac_f32_e32 v4, v140, v0
	v_mul_f32_e32 v0, v141, v0
	v_fma_f32 v0, v140, v1, -v0
	v_cvt_f64_f32_e32 v[4:5], v4
	v_cvt_f64_f32_e32 v[0:1], v0
	v_mul_f64 v[4:5], v[4:5], s[0:1]
	v_mul_f64 v[0:1], v[0:1], s[0:1]
	v_cvt_f32_f64_e32 v4, v[4:5]
	v_cvt_f32_f64_e32 v5, v[0:1]
	v_lshl_add_u64 v[0:1], v[6:7], 0, s[10:11]
	global_store_dwordx2 v[0:1], v[4:5], off
	v_mul_f32_e32 v4, v139, v9
	v_fmac_f32_e32 v4, v138, v8
	v_cvt_f64_f32_e32 v[4:5], v4
	v_mul_f64 v[4:5], v[4:5], s[0:1]
	v_cvt_f32_f64_e32 v4, v[4:5]
	v_mul_f32_e32 v5, v139, v8
	v_fma_f32 v5, v138, v9, -v5
	v_cvt_f64_f32_e32 v[6:7], v5
	v_mul_f64 v[6:7], v[6:7], s[0:1]
	v_cvt_f32_f64_e32 v5, v[6:7]
	v_lshl_add_u64 v[0:1], v[0:1], 0, s[8:9]
	global_store_dwordx2 v[0:1], v[4:5], off
	v_mul_f32_e32 v4, v137, v3
	v_fmac_f32_e32 v4, v136, v2
	v_mul_f32_e32 v2, v137, v2
	v_fma_f32 v2, v136, v3, -v2
	v_cvt_f64_f32_e32 v[4:5], v4
	v_cvt_f64_f32_e32 v[2:3], v2
	v_mul_f64 v[4:5], v[4:5], s[0:1]
	v_mul_f64 v[2:3], v[2:3], s[0:1]
	v_cvt_f32_f64_e32 v4, v[4:5]
	v_cvt_f32_f64_e32 v5, v[2:3]
	v_lshl_add_u64 v[0:1], v[0:1], 0, s[10:11]
	global_store_dwordx2 v[0:1], v[4:5], off
	s_and_b64 exec, exec, s[6:7]
	s_cbranch_execz .LBB0_25
; %bb.24:
	v_add_co_u32_e32 v2, vcc, 0x1000, v134
	v_lshl_add_u64 v[0:1], s[4:5], 3, v[0:1]
	s_nop 0
	v_addc_co_u32_e32 v3, vcc, 0, v135, vcc
	global_load_dwordx2 v[2:3], v[2:3], off offset:2960
	ds_read_b64 v[4:5], v132 offset:7056
	ds_read_b64 v[6:7], v132 offset:14616
	v_add_co_u32_e32 v8, vcc, s12, v134
	s_waitcnt vmcnt(0) lgkmcnt(1)
	v_mul_f32_e32 v10, v5, v3
	v_mul_f32_e32 v3, v4, v3
	v_fmac_f32_e32 v10, v4, v2
	v_fma_f32 v4, v2, v5, -v3
	v_cvt_f64_f32_e32 v[2:3], v10
	v_cvt_f64_f32_e32 v[4:5], v4
	v_mul_f64 v[2:3], v[2:3], s[0:1]
	v_mul_f64 v[4:5], v[4:5], s[0:1]
	v_cvt_f32_f64_e32 v2, v[2:3]
	v_cvt_f32_f64_e32 v3, v[4:5]
	v_addc_co_u32_e32 v9, vcc, 0, v135, vcc
	global_store_dwordx2 v[0:1], v[2:3], off
	global_load_dwordx2 v[2:3], v[8:9], off offset:2328
	v_lshl_add_u64 v[0:1], s[2:3], 3, v[0:1]
	s_waitcnt vmcnt(0) lgkmcnt(0)
	v_mul_f32_e32 v4, v7, v3
	v_mul_f32_e32 v3, v6, v3
	v_fmac_f32_e32 v4, v6, v2
	v_fma_f32 v5, v2, v7, -v3
	v_cvt_f64_f32_e32 v[2:3], v4
	v_cvt_f64_f32_e32 v[4:5], v5
	v_mul_f64 v[2:3], v[2:3], s[0:1]
	v_mul_f64 v[4:5], v[4:5], s[0:1]
	v_cvt_f32_f64_e32 v2, v[2:3]
	v_cvt_f32_f64_e32 v3, v[4:5]
	global_store_dwordx2 v[0:1], v[2:3], off
.LBB0_25:
	s_endpgm
	.section	.rodata,"a",@progbits
	.p2align	6, 0x0
	.amdhsa_kernel bluestein_single_back_len1890_dim1_sp_op_CI_CI
		.amdhsa_group_segment_fixed_size 15120
		.amdhsa_private_segment_fixed_size 0
		.amdhsa_kernarg_size 104
		.amdhsa_user_sgpr_count 2
		.amdhsa_user_sgpr_dispatch_ptr 0
		.amdhsa_user_sgpr_queue_ptr 0
		.amdhsa_user_sgpr_kernarg_segment_ptr 1
		.amdhsa_user_sgpr_dispatch_id 0
		.amdhsa_user_sgpr_kernarg_preload_length 0
		.amdhsa_user_sgpr_kernarg_preload_offset 0
		.amdhsa_user_sgpr_private_segment_size 0
		.amdhsa_uses_dynamic_stack 0
		.amdhsa_enable_private_segment 0
		.amdhsa_system_sgpr_workgroup_id_x 1
		.amdhsa_system_sgpr_workgroup_id_y 0
		.amdhsa_system_sgpr_workgroup_id_z 0
		.amdhsa_system_sgpr_workgroup_info 0
		.amdhsa_system_vgpr_workitem_id 0
		.amdhsa_next_free_vgpr 257
		.amdhsa_next_free_sgpr 32
		.amdhsa_accum_offset 256
		.amdhsa_reserve_vcc 1
		.amdhsa_float_round_mode_32 0
		.amdhsa_float_round_mode_16_64 0
		.amdhsa_float_denorm_mode_32 3
		.amdhsa_float_denorm_mode_16_64 3
		.amdhsa_dx10_clamp 1
		.amdhsa_ieee_mode 1
		.amdhsa_fp16_overflow 0
		.amdhsa_tg_split 0
		.amdhsa_exception_fp_ieee_invalid_op 0
		.amdhsa_exception_fp_denorm_src 0
		.amdhsa_exception_fp_ieee_div_zero 0
		.amdhsa_exception_fp_ieee_overflow 0
		.amdhsa_exception_fp_ieee_underflow 0
		.amdhsa_exception_fp_ieee_inexact 0
		.amdhsa_exception_int_div_zero 0
	.end_amdhsa_kernel
	.text
.Lfunc_end0:
	.size	bluestein_single_back_len1890_dim1_sp_op_CI_CI, .Lfunc_end0-bluestein_single_back_len1890_dim1_sp_op_CI_CI
                                        ; -- End function
	.section	.AMDGPU.csdata,"",@progbits
; Kernel info:
; codeLenInByte = 19128
; NumSgprs: 38
; NumVgprs: 256
; NumAgprs: 1
; TotalNumVgprs: 257
; ScratchSize: 0
; MemoryBound: 0
; FloatMode: 240
; IeeeMode: 1
; LDSByteSize: 15120 bytes/workgroup (compile time only)
; SGPRBlocks: 4
; VGPRBlocks: 32
; NumSGPRsForWavesPerEU: 38
; NumVGPRsForWavesPerEU: 257
; AccumOffset: 256
; Occupancy: 1
; WaveLimiterHint : 1
; COMPUTE_PGM_RSRC2:SCRATCH_EN: 0
; COMPUTE_PGM_RSRC2:USER_SGPR: 2
; COMPUTE_PGM_RSRC2:TRAP_HANDLER: 0
; COMPUTE_PGM_RSRC2:TGID_X_EN: 1
; COMPUTE_PGM_RSRC2:TGID_Y_EN: 0
; COMPUTE_PGM_RSRC2:TGID_Z_EN: 0
; COMPUTE_PGM_RSRC2:TIDIG_COMP_CNT: 0
; COMPUTE_PGM_RSRC3_GFX90A:ACCUM_OFFSET: 63
; COMPUTE_PGM_RSRC3_GFX90A:TG_SPLIT: 0
	.text
	.p2alignl 6, 3212836864
	.fill 256, 4, 3212836864
	.type	__hip_cuid_4ed4b4df3b695b5a,@object ; @__hip_cuid_4ed4b4df3b695b5a
	.section	.bss,"aw",@nobits
	.globl	__hip_cuid_4ed4b4df3b695b5a
__hip_cuid_4ed4b4df3b695b5a:
	.byte	0                               ; 0x0
	.size	__hip_cuid_4ed4b4df3b695b5a, 1

	.ident	"AMD clang version 19.0.0git (https://github.com/RadeonOpenCompute/llvm-project roc-6.4.0 25133 c7fe45cf4b819c5991fe208aaa96edf142730f1d)"
	.section	".note.GNU-stack","",@progbits
	.addrsig
	.addrsig_sym __hip_cuid_4ed4b4df3b695b5a
	.amdgpu_metadata
---
amdhsa.kernels:
  - .agpr_count:     1
    .args:
      - .actual_access:  read_only
        .address_space:  global
        .offset:         0
        .size:           8
        .value_kind:     global_buffer
      - .actual_access:  read_only
        .address_space:  global
        .offset:         8
        .size:           8
        .value_kind:     global_buffer
      - .actual_access:  read_only
        .address_space:  global
        .offset:         16
        .size:           8
        .value_kind:     global_buffer
      - .actual_access:  read_only
        .address_space:  global
        .offset:         24
        .size:           8
        .value_kind:     global_buffer
      - .actual_access:  read_only
        .address_space:  global
        .offset:         32
        .size:           8
        .value_kind:     global_buffer
      - .offset:         40
        .size:           8
        .value_kind:     by_value
      - .address_space:  global
        .offset:         48
        .size:           8
        .value_kind:     global_buffer
      - .address_space:  global
        .offset:         56
        .size:           8
        .value_kind:     global_buffer
      - .address_space:  global
        .offset:         64
        .size:           8
        .value_kind:     global_buffer
      - .address_space:  global
        .offset:         72
        .size:           8
        .value_kind:     global_buffer
      - .offset:         80
        .size:           4
        .value_kind:     by_value
      - .address_space:  global
        .offset:         88
        .size:           8
        .value_kind:     global_buffer
      - .address_space:  global
        .offset:         96
        .size:           8
        .value_kind:     global_buffer
    .group_segment_fixed_size: 15120
    .kernarg_segment_align: 8
    .kernarg_segment_size: 104
    .language:       OpenCL C
    .language_version:
      - 2
      - 0
    .max_flat_workgroup_size: 126
    .name:           bluestein_single_back_len1890_dim1_sp_op_CI_CI
    .private_segment_fixed_size: 0
    .sgpr_count:     38
    .sgpr_spill_count: 0
    .symbol:         bluestein_single_back_len1890_dim1_sp_op_CI_CI.kd
    .uniform_work_group_size: 1
    .uses_dynamic_stack: false
    .vgpr_count:     257
    .vgpr_spill_count: 0
    .wavefront_size: 64
amdhsa.target:   amdgcn-amd-amdhsa--gfx950
amdhsa.version:
  - 1
  - 2
...

	.end_amdgpu_metadata
